;; amdgpu-corpus repo=ROCm/rocFFT kind=compiled arch=gfx906 opt=O3
	.text
	.amdgcn_target "amdgcn-amd-amdhsa--gfx906"
	.amdhsa_code_object_version 6
	.protected	bluestein_single_back_len80_dim1_half_op_CI_CI ; -- Begin function bluestein_single_back_len80_dim1_half_op_CI_CI
	.globl	bluestein_single_back_len80_dim1_half_op_CI_CI
	.p2align	8
	.type	bluestein_single_back_len80_dim1_half_op_CI_CI,@function
bluestein_single_back_len80_dim1_half_op_CI_CI: ; @bluestein_single_back_len80_dim1_half_op_CI_CI
; %bb.0:
	v_mul_u32_u24_e32 v1, 0x199a, v0
	s_load_dwordx4 s[8:11], s[4:5], 0x28
	v_lshrrev_b32_e32 v1, 16, v1
	v_mad_u64_u32 v[9:10], s[0:1], s6, 6, v[1:2]
	v_mov_b32_e32 v10, 0
	s_waitcnt lgkmcnt(0)
	v_cmp_gt_u64_e32 vcc, s[8:9], v[9:10]
	s_and_saveexec_b64 s[0:1], vcc
	s_cbranch_execz .LBB0_15
; %bb.1:
	s_load_dwordx4 s[12:15], s[4:5], 0x18
	s_load_dwordx2 s[16:17], s[4:5], 0x0
	v_mul_lo_u16_e32 v1, 10, v1
	v_sub_u16_e32 v26, v0, v1
	v_or_b32_e32 v24, 16, v26
	s_waitcnt lgkmcnt(0)
	s_load_dwordx4 s[0:3], s[12:13], 0x0
	v_or_b32_e32 v22, 32, v26
	v_or_b32_e32 v20, 48, v26
	v_lshlrev_b32_e32 v11, 2, v26
	global_load_dword v28, v11, s[16:17]
	s_waitcnt lgkmcnt(0)
	v_mad_u64_u32 v[0:1], s[6:7], s2, v9, 0
	v_mad_u64_u32 v[2:3], s[6:7], s0, v26, 0
	v_or_b32_e32 v19, 64, v26
	v_mad_u64_u32 v[4:5], s[2:3], s3, v9, v[1:2]
	v_mad_u64_u32 v[5:6], s[2:3], s1, v26, v[3:4]
	v_mov_b32_e32 v1, v4
	v_lshlrev_b64 v[0:1], 2, v[0:1]
	v_mov_b32_e32 v3, v5
	v_mov_b32_e32 v6, s11
	v_add_co_u32_e32 v0, vcc, s10, v0
	v_lshlrev_b64 v[2:3], 2, v[2:3]
	v_mad_u64_u32 v[4:5], s[2:3], s0, v24, 0
	v_addc_co_u32_e32 v1, vcc, v6, v1, vcc
	v_add_co_u32_e32 v2, vcc, v0, v2
	v_addc_co_u32_e32 v3, vcc, v1, v3, vcc
	global_load_dword v10, v[2:3], off
	v_mov_b32_e32 v2, v5
	v_mad_u64_u32 v[2:3], s[2:3], s1, v24, v[2:3]
	v_mad_u64_u32 v[6:7], s[2:3], s0, v22, 0
	v_mov_b32_e32 v5, v2
	v_lshlrev_b64 v[2:3], 2, v[4:5]
	v_mov_b32_e32 v4, v7
	v_mad_u64_u32 v[4:5], s[2:3], s1, v22, v[4:5]
	v_add_co_u32_e32 v2, vcc, v0, v2
	v_mov_b32_e32 v7, v4
	v_lshlrev_b64 v[4:5], 2, v[6:7]
	v_mad_u64_u32 v[6:7], s[2:3], s0, v20, 0
	v_addc_co_u32_e32 v3, vcc, v1, v3, vcc
	v_add_co_u32_e32 v4, vcc, v0, v4
	v_addc_co_u32_e32 v5, vcc, v1, v5, vcc
	global_load_dword v12, v[2:3], off
	global_load_dword v13, v[4:5], off
	v_mov_b32_e32 v2, v7
	v_mad_u64_u32 v[2:3], s[2:3], s1, v20, v[2:3]
	v_mad_u64_u32 v[3:4], s[2:3], s0, v19, 0
	global_load_dword v27, v11, s[16:17] offset:64
	global_load_dword v25, v11, s[16:17] offset:128
	v_mov_b32_e32 v7, v2
	v_mov_b32_e32 v2, v4
	v_lshlrev_b64 v[5:6], 2, v[6:7]
	v_mad_u64_u32 v[7:8], s[2:3], s1, v19, v[2:3]
	v_add_co_u32_e32 v4, vcc, v0, v5
	v_addc_co_u32_e32 v5, vcc, v1, v6, vcc
	global_load_dword v6, v[4:5], off
	global_load_dword v23, v11, s[16:17] offset:192
	v_mov_b32_e32 v4, v7
	v_lshlrev_b64 v[2:3], 2, v[3:4]
	s_mov_b32 s2, 0xaaaaaaab
	v_add_co_u32_e32 v2, vcc, v0, v2
	v_addc_co_u32_e32 v3, vcc, v1, v3, vcc
	global_load_dword v4, v[2:3], off
	global_load_dword v21, v11, s[16:17] offset:256
	v_mul_hi_u32 v2, v9, s2
	v_mov_b32_e32 v3, s17
	v_add_co_u32_e32 v7, vcc, s16, v11
	v_lshrrev_b32_e32 v2, 2, v2
	v_mul_lo_u32 v2, v2, 6
	v_addc_co_u32_e32 v8, vcc, 0, v3, vcc
	v_sub_u32_e32 v2, v9, v2
	v_mul_u32_u24_e32 v30, 0x50, v2
	v_or_b32_e32 v2, v30, v26
	v_lshlrev_b32_e32 v29, 2, v2
	v_lshl_add_u32 v18, v30, 2, v11
	s_waitcnt vmcnt(8)
	v_lshrrev_b32_e32 v2, 16, v10
	v_mul_f16_sdwa v3, v28, v10 dst_sel:DWORD dst_unused:UNUSED_PAD src0_sel:WORD_1 src1_sel:DWORD
	v_fma_f16 v3, v28, v2, -v3
	v_mul_f16_sdwa v2, v28, v2 dst_sel:DWORD dst_unused:UNUSED_PAD src0_sel:WORD_1 src1_sel:DWORD
	v_fma_f16 v2, v28, v10, v2
	v_pack_b32_f16 v2, v2, v3
	ds_write_b32 v29, v2
	s_load_dwordx2 s[6:7], s[4:5], 0x38
	s_load_dwordx4 s[8:11], s[14:15], 0x0
	s_waitcnt vmcnt(7)
	v_lshrrev_b32_e32 v5, 16, v12
	s_waitcnt vmcnt(5)
	v_mul_f16_sdwa v14, v27, v5 dst_sel:DWORD dst_unused:UNUSED_PAD src0_sel:WORD_1 src1_sel:DWORD
	v_mul_f16_sdwa v3, v27, v12 dst_sel:DWORD dst_unused:UNUSED_PAD src0_sel:WORD_1 src1_sel:DWORD
	v_fma_f16 v2, v27, v12, v14
	v_fma_f16 v3, v27, v5, -v3
	v_pack_b32_f16 v2, v2, v3
	v_lshrrev_b32_e32 v3, 16, v13
	s_waitcnt vmcnt(4)
	v_mul_f16_sdwa v5, v25, v3 dst_sel:DWORD dst_unused:UNUSED_PAD src0_sel:WORD_1 src1_sel:DWORD
	v_mul_f16_sdwa v10, v25, v13 dst_sel:DWORD dst_unused:UNUSED_PAD src0_sel:WORD_1 src1_sel:DWORD
	v_fma_f16 v5, v25, v13, v5
	v_fma_f16 v3, v25, v3, -v10
	v_pack_b32_f16 v3, v5, v3
	ds_write2_b32 v18, v2, v3 offset0:16 offset1:32
	s_waitcnt vmcnt(3)
	v_lshrrev_b32_e32 v2, 16, v6
	s_waitcnt vmcnt(2)
	v_mul_f16_sdwa v3, v23, v2 dst_sel:DWORD dst_unused:UNUSED_PAD src0_sel:WORD_1 src1_sel:DWORD
	v_mul_f16_sdwa v5, v23, v6 dst_sel:DWORD dst_unused:UNUSED_PAD src0_sel:WORD_1 src1_sel:DWORD
	v_fma_f16 v3, v23, v6, v3
	v_fma_f16 v2, v23, v2, -v5
	v_pack_b32_f16 v2, v3, v2
	s_waitcnt vmcnt(1)
	v_lshrrev_b32_e32 v3, 16, v4
	s_waitcnt vmcnt(0)
	v_mul_f16_sdwa v5, v21, v3 dst_sel:DWORD dst_unused:UNUSED_PAD src0_sel:WORD_1 src1_sel:DWORD
	v_fma_f16 v5, v21, v4, v5
	v_mul_f16_sdwa v4, v21, v4 dst_sel:DWORD dst_unused:UNUSED_PAD src0_sel:WORD_1 src1_sel:DWORD
	v_fma_f16 v3, v21, v3, -v4
	v_add_co_u32_e32 v6, vcc, 10, v26
	v_pack_b32_f16 v3, v5, v3
	v_cmp_gt_u16_e32 vcc, 6, v26
	ds_write2_b32 v18, v2, v3 offset0:48 offset1:64
	s_and_saveexec_b64 s[2:3], vcc
	s_cbranch_execz .LBB0_3
; %bb.2:
	v_mad_u64_u32 v[2:3], s[12:13], s0, v6, 0
	v_mad_u64_u32 v[3:4], s[12:13], s1, v6, v[3:4]
	s_lshl_b64 s[12:13], s[0:1], 6
	global_load_dword v4, v[7:8], off offset:40
	v_lshlrev_b64 v[2:3], 2, v[2:3]
	v_add_co_u32_e64 v0, s[0:1], v0, v2
	v_addc_co_u32_e64 v1, s[0:1], v1, v3, s[0:1]
	global_load_dword v2, v[0:1], off
	v_mov_b32_e32 v3, s13
	v_add_co_u32_e64 v0, s[0:1], s12, v0
	v_addc_co_u32_e64 v1, s[0:1], v1, v3, s[0:1]
	global_load_dword v5, v[0:1], off
	global_load_dword v10, v[7:8], off offset:104
	v_add_co_u32_e64 v0, s[0:1], s12, v0
	v_addc_co_u32_e64 v1, s[0:1], v1, v3, s[0:1]
	global_load_dword v11, v[0:1], off
	global_load_dword v12, v[7:8], off offset:168
	;; [unrolled: 4-line block ×4, first 2 shown]
	s_waitcnt vmcnt(8)
	v_lshrrev_b32_e32 v0, 16, v2
	v_mul_f16_sdwa v1, v4, v2 dst_sel:DWORD dst_unused:UNUSED_PAD src0_sel:WORD_1 src1_sel:DWORD
	v_mul_f16_sdwa v16, v4, v0 dst_sel:DWORD dst_unused:UNUSED_PAD src0_sel:WORD_1 src1_sel:DWORD
	v_fma_f16 v0, v4, v0, -v1
	v_fma_f16 v2, v4, v2, v16
	s_waitcnt vmcnt(7)
	v_lshrrev_b32_e32 v1, 16, v5
	s_waitcnt vmcnt(6)
	v_mul_f16_sdwa v17, v10, v5 dst_sel:DWORD dst_unused:UNUSED_PAD src0_sel:WORD_1 src1_sel:DWORD
	v_mul_f16_sdwa v4, v10, v1 dst_sel:DWORD dst_unused:UNUSED_PAD src0_sel:WORD_1 src1_sel:DWORD
	v_fma_f16 v1, v10, v1, -v17
	v_pack_b32_f16 v0, v2, v0
	s_waitcnt vmcnt(5)
	v_lshrrev_b32_e32 v16, 16, v11
	s_waitcnt vmcnt(4)
	v_mul_f16_sdwa v17, v12, v11 dst_sel:DWORD dst_unused:UNUSED_PAD src0_sel:WORD_1 src1_sel:DWORD
	v_fma_f16 v2, v10, v5, v4
	v_mul_f16_sdwa v4, v12, v16 dst_sel:DWORD dst_unused:UNUSED_PAD src0_sel:WORD_1 src1_sel:DWORD
	v_fma_f16 v5, v12, v16, -v17
	s_waitcnt vmcnt(3)
	v_lshrrev_b32_e32 v10, 16, v13
	s_waitcnt vmcnt(2)
	v_mul_f16_sdwa v16, v14, v13 dst_sel:DWORD dst_unused:UNUSED_PAD src0_sel:WORD_1 src1_sel:DWORD
	v_pack_b32_f16 v1, v2, v1
	v_fma_f16 v2, v12, v11, v4
	v_mul_f16_sdwa v4, v14, v10 dst_sel:DWORD dst_unused:UNUSED_PAD src0_sel:WORD_1 src1_sel:DWORD
	s_waitcnt vmcnt(1)
	v_lshrrev_b32_e32 v11, 16, v3
	v_fma_f16 v10, v14, v10, -v16
	s_waitcnt vmcnt(0)
	v_mul_f16_sdwa v12, v15, v3 dst_sel:DWORD dst_unused:UNUSED_PAD src0_sel:WORD_1 src1_sel:DWORD
	ds_write2_b32 v18, v0, v1 offset0:10 offset1:26
	v_pack_b32_f16 v0, v2, v5
	v_fma_f16 v1, v14, v13, v4
	v_mul_f16_sdwa v2, v15, v11 dst_sel:DWORD dst_unused:UNUSED_PAD src0_sel:WORD_1 src1_sel:DWORD
	v_fma_f16 v4, v15, v11, -v12
	v_pack_b32_f16 v1, v1, v10
	v_fma_f16 v2, v15, v3, v2
	ds_write2_b32 v18, v0, v1 offset0:42 offset1:58
	v_pack_b32_f16 v0, v2, v4
	ds_write_b32 v18, v0 offset:296
.LBB0_3:
	s_or_b64 exec, exec, s[2:3]
	s_waitcnt lgkmcnt(0)
	; wave barrier
	s_waitcnt lgkmcnt(0)
	ds_read_b32 v15, v29
	ds_read2_b32 v[4:5], v18 offset0:16 offset1:32
	ds_read2_b32 v[12:13], v18 offset0:48 offset1:64
	s_load_dwordx2 s[2:3], s[4:5], 0x8
                                        ; implicit-def: $vgpr14
                                        ; implicit-def: $vgpr1
                                        ; implicit-def: $vgpr3
	s_and_saveexec_b64 s[0:1], vcc
	s_cbranch_execz .LBB0_5
; %bb.4:
	ds_read2_b32 v[2:3], v18 offset0:10 offset1:26
	ds_read2_b32 v[0:1], v18 offset0:42 offset1:58
	ds_read_b32 v14, v18 offset:296
.LBB0_5:
	s_or_b64 exec, exec, s[0:1]
	s_waitcnt lgkmcnt(0)
	v_pk_add_f16 v11, v1, v0
	v_pk_add_f16 v31, v3, v14 neg_lo:[0,1] neg_hi:[0,1]
	s_movk_i32 s0, 0x3b9c
	v_pk_fma_f16 v11, v11, 0.5, v2 op_sel_hi:[1,0,1] neg_lo:[1,0,0] neg_hi:[1,0,0]
	v_pk_mul_f16 v32, v31, s0 op_sel_hi:[1,0]
	v_pk_add_f16 v16, v11, v32 op_sel:[0,1] op_sel_hi:[1,0] neg_lo:[0,1] neg_hi:[0,1]
	v_pk_add_f16 v36, v32, v11 op_sel:[1,0] op_sel_hi:[0,1]
	v_mul_lo_u16_e32 v11, 5, v26
	v_add_lshl_u32 v32, v30, v11, 2
	v_pk_add_f16 v11, v5, v12
	v_pk_add_f16 v41, v4, v13 neg_lo:[0,1] neg_hi:[0,1]
	s_movk_i32 s1, 0x38b4
	v_pk_fma_f16 v11, v11, 0.5, v15 op_sel_hi:[1,0,1] neg_lo:[1,0,0] neg_hi:[1,0,0]
	v_pk_mul_f16 v37, v41, s0 op_sel_hi:[1,0]
	v_pk_add_f16 v42, v5, v12 neg_lo:[0,1] neg_hi:[0,1]
	v_pk_add_f16 v38, v4, v5 neg_lo:[0,1] neg_hi:[0,1]
	;; [unrolled: 1-line block ×3, first 2 shown]
	v_pk_add_f16 v10, v15, v4
	v_pk_add_f16 v43, v38, v39
	v_pk_add_f16 v38, v11, v37 op_sel:[0,1] op_sel_hi:[1,0]
	v_pk_add_f16 v11, v11, v37 op_sel:[0,1] op_sel_hi:[1,0] neg_lo:[0,1] neg_hi:[0,1]
	v_pk_mul_f16 v37, v42, s1 op_sel_hi:[1,0]
	v_pk_add_f16 v10, v10, v5
	v_pk_add_f16 v44, v38, v37 op_sel:[0,1] op_sel_hi:[1,0]
	s_mov_b32 s4, 0xffff
	v_pk_add_f16 v45, v11, v37 op_sel:[0,1] op_sel_hi:[1,0] neg_lo:[0,1] neg_hi:[0,1]
	s_movk_i32 s5, 0x34f2
	v_pk_add_f16 v10, v10, v12
	v_bfi_b32 v11, s4, v44, v45
	v_pk_add_f16 v10, v10, v13
	v_pk_fma_f16 v11, v43, s5, v11 op_sel_hi:[1,0,1]
	s_waitcnt lgkmcnt(0)
	; wave barrier
	ds_write2_b32 v32, v10, v11 offset1:1
	v_pk_add_f16 v10, v0, v3 neg_lo:[0,1] neg_hi:[0,1]
	v_pk_add_f16 v11, v1, v14 neg_lo:[0,1] neg_hi:[0,1]
	;; [unrolled: 1-line block ×3, first 2 shown]
	v_pk_add_f16 v10, v11, v10
	v_pk_add_f16 v11, v14, v3
	v_pk_mul_f16 v35, v33, s1 op_sel_hi:[1,0]
	v_pk_add_f16 v17, v3, v0 neg_lo:[0,1] neg_hi:[0,1]
	v_pk_add_f16 v34, v14, v1 neg_lo:[0,1] neg_hi:[0,1]
	v_pk_fma_f16 v39, v11, 0.5, v2 op_sel_hi:[1,0,1] neg_lo:[1,0,0] neg_hi:[1,0,0]
	v_pk_mul_f16 v33, v33, s0 op_sel_hi:[1,0]
	v_pk_add_f16 v17, v34, v17
	v_pk_mul_f16 v40, v31, s1 op_sel_hi:[1,0]
	v_pk_add_f16 v38, v33, v39 op_sel:[1,0] op_sel_hi:[0,1]
	v_pk_add_f16 v39, v39, v33 op_sel:[0,1] op_sel_hi:[1,0] neg_lo:[0,1] neg_hi:[0,1]
	v_pk_add_f16 v31, v4, v13
	v_pk_add_f16 v4, v5, v4 neg_lo:[0,1] neg_hi:[0,1]
	v_pk_add_f16 v5, v12, v13 neg_lo:[0,1] neg_hi:[0,1]
	v_pk_mul_f16 v17, v17, s5 op_sel_hi:[1,0]
	v_sub_f16_sdwa v34, v16, v35 dst_sel:DWORD dst_unused:UNUSED_PAD src0_sel:DWORD src1_sel:WORD_1
	v_pk_mul_f16 v37, v10, s5 op_sel_hi:[1,0]
	v_pk_fma_f16 v15, v31, 0.5, v15 op_sel_hi:[1,0,1] neg_lo:[1,0,0] neg_hi:[1,0,0]
	v_add_f16_sdwa v12, v35, v36 dst_sel:DWORD dst_unused:UNUSED_PAD src0_sel:DWORD src1_sel:WORD_1
	v_pk_add_f16 v4, v4, v5
	v_pk_mul_f16 v5, v42, s0 op_sel_hi:[1,0]
	v_add_f16_sdwa v13, v40, v39 dst_sel:DWORD dst_unused:UNUSED_PAD src0_sel:DWORD src1_sel:WORD_1
	v_add_f16_e32 v11, v17, v34
	v_add_f16_sdwa v33, v17, v12 dst_sel:DWORD dst_unused:UNUSED_PAD src0_sel:WORD_1 src1_sel:DWORD
	v_pk_add_f16 v12, v15, v5 op_sel:[0,1] op_sel_hi:[1,0] neg_lo:[0,1] neg_hi:[0,1]
	v_pk_add_f16 v5, v15, v5 op_sel:[0,1] op_sel_hi:[1,0]
	v_add_f16_sdwa v34, v37, v13 dst_sel:DWORD dst_unused:UNUSED_PAD src0_sel:WORD_1 src1_sel:DWORD
	v_pk_mul_f16 v13, v41, s1 op_sel_hi:[1,0]
	v_pk_add_f16 v12, v12, v13 op_sel:[0,1] op_sel_hi:[1,0]
	v_pk_add_f16 v5, v5, v13 op_sel:[0,1] op_sel_hi:[1,0] neg_lo:[0,1] neg_hi:[0,1]
	v_bfi_b32 v13, s4, v12, v5
	v_bfi_b32 v5, s4, v5, v12
	v_pk_fma_f16 v13, v4, s5, v13 op_sel_hi:[1,0,1]
	v_pk_fma_f16 v4, v4, s5, v5 op_sel_hi:[1,0,1]
	v_sub_f16_sdwa v10, v38, v40 dst_sel:DWORD dst_unused:UNUSED_PAD src0_sel:DWORD src1_sel:WORD_1
	ds_write2_b32 v32, v13, v4 offset0:2 offset1:3
	v_bfi_b32 v4, s4, v45, v44
	v_add_f16_e32 v10, v37, v10
	v_pk_fma_f16 v4, v43, s5, v4 op_sel_hi:[1,0,1]
	v_mul_u32_u24_e32 v31, 5, v6
	ds_write_b32 v32, v4 offset:16
	s_and_saveexec_b64 s[0:1], vcc
	s_cbranch_execz .LBB0_7
; %bb.6:
	v_pk_add_f16 v2, v3, v2
	v_alignbit_b32 v4, v35, v35, 16
	v_pk_add_f16 v0, v0, v2
	v_pk_add_f16 v0, v1, v0
	;; [unrolled: 1-line block ×3, first 2 shown]
	v_pk_add_f16 v2, v16, v4 neg_lo:[0,1] neg_hi:[0,1]
	v_bfi_b32 v1, s4, v1, v2
	v_alignbit_b32 v5, v40, v40, 16
	v_add_lshl_u32 v3, v30, v31, 2
	v_pk_add_f16 v0, v14, v0
	v_pk_add_f16 v1, v17, v1
	ds_write2_b32 v3, v0, v1 offset1:1
	v_pk_add_f16 v0, v39, v5
	v_pk_add_f16 v1, v38, v5 neg_lo:[0,1] neg_hi:[0,1]
	v_bfi_b32 v0, s4, v0, v1
	s_mov_b32 s4, 0x5040100
	v_pk_add_f16 v0, v37, v0
	v_perm_b32 v1, v34, v10, s4
	ds_write2_b32 v3, v0, v1 offset0:2 offset1:3
	v_perm_b32 v0, v33, v11, s4
	ds_write_b32 v3, v0 offset:16
.LBB0_7:
	s_or_b64 exec, exec, s[0:1]
	v_add_co_u32_e64 v0, s[0:1], -5, v26
	v_addc_co_u32_e64 v1, s[0:1], 0, -1, s[0:1]
	v_cmp_gt_u16_e64 s[0:1], 5, v26
	v_cndmask_b32_e64 v1, v1, 0, s[0:1]
	v_cndmask_b32_e64 v0, v0, v26, s[0:1]
	s_movk_i32 s0, 0xcd
	v_mul_lo_u16_sdwa v4, v6, s0 dst_sel:DWORD dst_unused:UNUSED_PAD src0_sel:BYTE_0 src1_sel:DWORD
	v_lshrrev_b16_e32 v12, 10, v4
	v_mul_lo_u16_e32 v4, 5, v12
	v_sub_u16_e32 v13, v6, v4
	v_add_u16_e32 v6, 20, v26
	v_mul_lo_u16_sdwa v14, v6, s0 dst_sel:DWORD dst_unused:UNUSED_PAD src0_sel:BYTE_0 src1_sel:DWORD
	v_add_u16_e32 v16, 30, v26
	v_lshrrev_b16_e32 v14, 10, v14
	v_mul_lo_u16_sdwa v17, v16, s0 dst_sel:DWORD dst_unused:UNUSED_PAD src0_sel:BYTE_0 src1_sel:DWORD
	v_lshlrev_b64 v[1:2], 2, v[0:1]
	v_mul_lo_u16_e32 v15, 5, v14
	v_lshrrev_b16_e32 v17, 10, v17
	v_mov_b32_e32 v4, 2
	v_sub_u16_e32 v15, v6, v15
	v_mul_lo_u16_e32 v35, 5, v17
	v_mov_b32_e32 v3, s3
	v_lshlrev_b32_sdwa v5, v4, v13 dst_sel:DWORD dst_unused:UNUSED_PAD src0_sel:DWORD src1_sel:BYTE_0
	v_lshlrev_b32_sdwa v6, v4, v15 dst_sel:DWORD dst_unused:UNUSED_PAD src0_sel:DWORD src1_sel:BYTE_0
	v_sub_u16_e32 v16, v16, v35
	v_add_co_u32_e64 v1, s[0:1], s2, v1
	s_waitcnt lgkmcnt(0)
	; wave barrier
	s_waitcnt lgkmcnt(0)
	global_load_dword v36, v5, s[2:3]
	global_load_dword v35, v6, s[2:3]
	v_lshlrev_b32_sdwa v4, v4, v16 dst_sel:DWORD dst_unused:UNUSED_PAD src0_sel:DWORD src1_sel:BYTE_0
	v_addc_co_u32_e64 v2, s[0:1], v3, v2, s[0:1]
	global_load_dword v39, v[1:2], off
	global_load_dword v37, v4, s[2:3]
	ds_read2_b32 v[1:2], v18 offset0:30 offset1:40
	ds_read2_b32 v[3:4], v18 offset0:10 offset1:20
	;; [unrolled: 1-line block ×3, first 2 shown]
	ds_read_b32 v40, v29
	ds_read_b32 v41, v18 offset:280
	v_cmp_lt_u16_e64 s[0:1], 4, v26
	v_cndmask_b32_e64 v38, 0, 10, s[0:1]
	s_waitcnt lgkmcnt(2)
	v_lshrrev_b32_e32 v46, 16, v6
	v_lshrrev_b32_e32 v42, 16, v2
	;; [unrolled: 1-line block ×3, first 2 shown]
	s_waitcnt lgkmcnt(0)
	v_lshrrev_b32_e32 v48, 16, v41
	v_add_u32_e32 v0, v0, v38
	v_mad_legacy_u16 v12, v12, 10, v13
	v_add_lshl_u32 v38, v30, v0, 2
	v_lshrrev_b32_e32 v0, 16, v40
	v_lshrrev_b32_e32 v43, 16, v3
	s_waitcnt lgkmcnt(0)
	; wave barrier
	v_lshrrev_b32_e32 v45, 16, v4
	v_lshrrev_b32_e32 v47, 16, v1
	s_waitcnt vmcnt(3)
	v_mul_f16_sdwa v49, v5, v36 dst_sel:DWORD dst_unused:UNUSED_PAD src0_sel:DWORD src1_sel:WORD_1
	s_waitcnt vmcnt(2)
	v_mul_f16_sdwa v50, v46, v35 dst_sel:DWORD dst_unused:UNUSED_PAD src0_sel:DWORD src1_sel:WORD_1
	v_mul_f16_sdwa v13, v44, v36 dst_sel:DWORD dst_unused:UNUSED_PAD src0_sel:DWORD src1_sel:WORD_1
	;; [unrolled: 1-line block ×3, first 2 shown]
	v_fma_f16 v6, v6, v35, -v50
	s_waitcnt vmcnt(1)
	v_mul_f16_sdwa v50, v42, v39 dst_sel:DWORD dst_unused:UNUSED_PAD src0_sel:DWORD src1_sel:WORD_1
	s_waitcnt vmcnt(0)
	v_mul_f16_sdwa v52, v48, v37 dst_sel:DWORD dst_unused:UNUSED_PAD src0_sel:DWORD src1_sel:WORD_1
	v_fma_f16 v44, v44, v36, v49
	v_mul_f16_sdwa v49, v2, v39 dst_sel:DWORD dst_unused:UNUSED_PAD src0_sel:DWORD src1_sel:WORD_1
	v_fma_f16 v5, v5, v36, -v13
	v_mul_f16_sdwa v13, v41, v37 dst_sel:DWORD dst_unused:UNUSED_PAD src0_sel:DWORD src1_sel:WORD_1
	v_fma_f16 v41, v41, v37, -v52
	v_fma_f16 v2, v2, v39, -v50
	v_fma_f16 v42, v42, v39, v49
	v_fma_f16 v13, v48, v37, v13
	v_sub_f16_e32 v48, v1, v41
	v_sub_f16_e32 v2, v40, v2
	;; [unrolled: 1-line block ×3, first 2 shown]
	v_fma_f16 v40, v40, 2.0, -v2
	v_fma_f16 v0, v0, 2.0, -v41
	v_sub_f16_e32 v5, v3, v5
	v_sub_f16_e32 v44, v43, v44
	v_pack_b32_f16 v2, v2, v41
	v_pack_b32_f16 v0, v40, v0
	v_fma_f16 v3, v3, 2.0, -v5
	v_fma_f16 v42, v43, 2.0, -v44
	ds_write2_b32 v38, v0, v2 offset1:5
	v_and_b32_e32 v0, 0xff, v12
	v_fma_f16 v46, v46, v35, v51
	v_add_lshl_u32 v40, v30, v0, 2
	v_pack_b32_f16 v0, v3, v42
	v_pack_b32_f16 v2, v5, v44
	v_sub_f16_e32 v6, v4, v6
	v_sub_f16_e32 v46, v45, v46
	ds_write2_b32 v40, v0, v2 offset1:5
	v_mad_legacy_u16 v0, v14, 10, v15
	v_fma_f16 v4, v4, 2.0, -v6
	v_fma_f16 v43, v45, 2.0, -v46
	v_and_b32_e32 v0, 0xff, v0
	v_add_lshl_u32 v41, v30, v0, 2
	v_pack_b32_f16 v0, v4, v43
	v_pack_b32_f16 v2, v6, v46
	v_sub_f16_e32 v13, v47, v13
	ds_write2_b32 v41, v0, v2 offset1:5
	v_mad_legacy_u16 v0, v17, 10, v16
	v_fma_f16 v1, v1, 2.0, -v48
	v_fma_f16 v45, v47, 2.0, -v13
	v_and_b32_e32 v0, 0xff, v0
	v_add_lshl_u32 v42, v30, v0, 2
	v_pack_b32_f16 v0, v1, v45
	v_pack_b32_f16 v1, v48, v13
	v_mad_u64_u32 v[12:13], s[0:1], v26, 28, s[2:3]
	ds_write2_b32 v42, v0, v1 offset1:5
	s_waitcnt lgkmcnt(0)
	; wave barrier
	s_waitcnt lgkmcnt(0)
	global_load_dwordx4 v[0:3], v[12:13], off offset:20
	global_load_dwordx3 v[4:6], v[12:13], off offset:36
	ds_read2_b32 v[12:13], v18 offset0:10 offset1:20
	ds_read2_b32 v[14:15], v18 offset0:30 offset1:40
	;; [unrolled: 1-line block ×3, first 2 shown]
	s_mov_b32 s0, 0xb9a8
	s_movk_i32 s1, 0x39a8
	s_waitcnt lgkmcnt(2)
	v_lshrrev_b32_e32 v43, 16, v12
	s_waitcnt lgkmcnt(1)
	v_lshrrev_b32_e32 v45, 16, v14
	v_lshrrev_b32_e32 v44, 16, v13
	;; [unrolled: 1-line block ×3, first 2 shown]
	s_waitcnt lgkmcnt(0)
	v_lshrrev_b32_e32 v47, 16, v16
	v_lshrrev_b32_e32 v53, 16, v17
	s_add_u32 s2, s16, 0x140
	s_addc_u32 s3, s17, 0
	s_waitcnt vmcnt(1)
	v_mul_f16_sdwa v48, v43, v0 dst_sel:DWORD dst_unused:UNUSED_PAD src0_sel:DWORD src1_sel:WORD_1
	v_mul_f16_sdwa v49, v12, v0 dst_sel:DWORD dst_unused:UNUSED_PAD src0_sel:DWORD src1_sel:WORD_1
	v_fma_f16 v12, v12, v0, -v48
	v_mul_f16_sdwa v48, v14, v2 dst_sel:DWORD dst_unused:UNUSED_PAD src0_sel:DWORD src1_sel:WORD_1
	v_mul_f16_sdwa v52, v45, v2 dst_sel:DWORD dst_unused:UNUSED_PAD src0_sel:DWORD src1_sel:WORD_1
	v_fma_f16 v45, v45, v2, v48
	ds_read_b32 v48, v18 offset:280
	v_mul_f16_sdwa v50, v44, v1 dst_sel:DWORD dst_unused:UNUSED_PAD src0_sel:DWORD src1_sel:WORD_1
	v_mul_f16_sdwa v51, v13, v1 dst_sel:DWORD dst_unused:UNUSED_PAD src0_sel:DWORD src1_sel:WORD_1
	v_fma_f16 v13, v13, v1, -v50
	v_mul_f16_sdwa v50, v46, v3 dst_sel:DWORD dst_unused:UNUSED_PAD src0_sel:DWORD src1_sel:WORD_1
	v_fma_f16 v14, v14, v2, -v52
	v_fma_f16 v50, v15, v3, -v50
	v_mul_f16_sdwa v15, v15, v3 dst_sel:DWORD dst_unused:UNUSED_PAD src0_sel:DWORD src1_sel:WORD_1
	s_waitcnt vmcnt(0)
	v_mul_f16_sdwa v52, v47, v4 dst_sel:DWORD dst_unused:UNUSED_PAD src0_sel:DWORD src1_sel:WORD_1
	v_fma_f16 v52, v16, v4, -v52
	v_mul_f16_sdwa v16, v16, v4 dst_sel:DWORD dst_unused:UNUSED_PAD src0_sel:DWORD src1_sel:WORD_1
	v_fma_f16 v15, v46, v3, v15
	ds_read_b32 v46, v29
	v_fma_f16 v16, v47, v4, v16
	s_waitcnt lgkmcnt(1)
	v_lshrrev_b32_e32 v47, 16, v48
	v_mul_f16_sdwa v54, v53, v5 dst_sel:DWORD dst_unused:UNUSED_PAD src0_sel:DWORD src1_sel:WORD_1
	v_fma_f16 v43, v43, v0, v49
	v_mul_f16_sdwa v49, v47, v6 dst_sel:DWORD dst_unused:UNUSED_PAD src0_sel:DWORD src1_sel:WORD_1
	v_fma_f16 v54, v17, v5, -v54
	v_mul_f16_sdwa v17, v17, v5 dst_sel:DWORD dst_unused:UNUSED_PAD src0_sel:DWORD src1_sel:WORD_1
	v_fma_f16 v49, v48, v6, -v49
	v_mul_f16_sdwa v48, v48, v6 dst_sel:DWORD dst_unused:UNUSED_PAD src0_sel:DWORD src1_sel:WORD_1
	v_fma_f16 v44, v44, v1, v51
	v_fma_f16 v17, v53, v5, v17
	;; [unrolled: 1-line block ×3, first 2 shown]
	s_waitcnt lgkmcnt(0)
	v_lshrrev_b32_e32 v48, 16, v46
	v_sub_f16_e32 v50, v46, v50
	v_sub_f16_e32 v17, v44, v17
	;; [unrolled: 1-line block ×8, first 2 shown]
	v_fma_f16 v53, v44, 2.0, -v17
	v_fma_f16 v45, v45, 2.0, -v47
	v_sub_f16_e32 v17, v50, v17
	v_sub_f16_e32 v47, v52, v47
	v_fma_f16 v46, v46, 2.0, -v50
	v_fma_f16 v13, v13, 2.0, -v51
	;; [unrolled: 1-line block ×3, first 2 shown]
	v_add_f16_e32 v51, v15, v51
	v_fma_f16 v50, v50, 2.0, -v17
	v_add_f16_e32 v49, v16, v49
	v_fma_f16 v44, v52, 2.0, -v47
	v_fma_f16 v48, v48, 2.0, -v15
	;; [unrolled: 1-line block ×6, first 2 shown]
	v_fma_f16 v43, v44, s0, v50
	v_fma_f16 v43, v16, s0, v43
	v_fma_f16 v16, v16, s0, v15
	v_fma_f16 v44, v44, s1, v16
	v_sub_f16_e32 v16, v46, v13
	v_sub_f16_e32 v13, v12, v45
	v_fma_f16 v52, v12, 2.0, -v13
	v_sub_f16_e32 v12, v16, v13
	v_fma_f16 v13, v47, s1, v17
	v_fma_f16 v45, v49, s1, v51
	v_sub_f16_e32 v14, v54, v14
	v_fma_f16 v13, v49, s0, v13
	v_fma_f16 v45, v47, s1, v45
	v_sub_f16_e32 v47, v48, v53
	v_fma_f16 v46, v46, 2.0, -v16
	v_fma_f16 v49, v54, 2.0, -v14
	;; [unrolled: 1-line block ×3, first 2 shown]
	v_sub_f16_e32 v49, v46, v49
	v_sub_f16_e32 v52, v48, v52
	v_fma_f16 v53, v46, 2.0, -v49
	v_add_f16_e32 v46, v47, v14
	v_fma_f16 v48, v48, 2.0, -v52
	v_fma_f16 v50, v50, 2.0, -v43
	;; [unrolled: 1-line block ×7, first 2 shown]
	v_pack_b32_f16 v48, v53, v48
	v_pack_b32_f16 v15, v50, v15
	;; [unrolled: 1-line block ×3, first 2 shown]
	ds_write_b32 v29, v48
	ds_write2_b32 v18, v15, v14 offset0:10 offset1:20
	v_pack_b32_f16 v14, v17, v47
	v_pack_b32_f16 v15, v49, v52
	ds_write2_b32 v18, v14, v15 offset0:30 offset1:40
	v_pack_b32_f16 v14, v43, v44
	v_pack_b32_f16 v15, v12, v46
	ds_write2_b32 v18, v14, v15 offset0:50 offset1:60
	v_pack_b32_f16 v14, v13, v45
	ds_write_b32 v18, v14 offset:280
	s_waitcnt lgkmcnt(0)
	; wave barrier
	s_waitcnt lgkmcnt(0)
	global_load_dword v15, v[7:8], off offset:320
	v_lshlrev_b32_e32 v14, 2, v26
	global_load_dword v17, v14, s[2:3] offset:64
	global_load_dword v47, v14, s[2:3] offset:128
	;; [unrolled: 1-line block ×3, first 2 shown]
	ds_read_b32 v16, v29
	s_waitcnt lgkmcnt(0)
	v_lshrrev_b32_e32 v49, 16, v16
	s_waitcnt vmcnt(3)
	v_mul_f16_sdwa v50, v49, v15 dst_sel:DWORD dst_unused:UNUSED_PAD src0_sel:DWORD src1_sel:WORD_1
	v_mul_f16_sdwa v51, v16, v15 dst_sel:DWORD dst_unused:UNUSED_PAD src0_sel:DWORD src1_sel:WORD_1
	v_fma_f16 v16, v16, v15, -v50
	v_fma_f16 v15, v49, v15, v51
	v_pack_b32_f16 v15, v16, v15
	ds_write_b32 v29, v15
	ds_read2_b32 v[15:16], v18 offset0:16 offset1:32
	s_waitcnt lgkmcnt(0)
	v_lshrrev_b32_e32 v49, 16, v15
	s_waitcnt vmcnt(2)
	v_mul_f16_sdwa v50, v15, v17 dst_sel:DWORD dst_unused:UNUSED_PAD src0_sel:DWORD src1_sel:WORD_1
	v_lshrrev_b32_e32 v51, 16, v16
	v_fma_f16 v50, v49, v17, v50
	v_mul_f16_sdwa v49, v49, v17 dst_sel:DWORD dst_unused:UNUSED_PAD src0_sel:DWORD src1_sel:WORD_1
	v_fma_f16 v17, v15, v17, -v49
	s_waitcnt vmcnt(1)
	v_mul_f16_sdwa v15, v51, v47 dst_sel:DWORD dst_unused:UNUSED_PAD src0_sel:DWORD src1_sel:WORD_1
	v_mul_f16_sdwa v52, v16, v47 dst_sel:DWORD dst_unused:UNUSED_PAD src0_sel:DWORD src1_sel:WORD_1
	v_fma_f16 v49, v16, v47, -v15
	ds_read2_b32 v[15:16], v18 offset0:48 offset1:64
	v_fma_f16 v47, v51, v47, v52
	v_pack_b32_f16 v17, v17, v50
	v_pack_b32_f16 v47, v49, v47
	s_waitcnt lgkmcnt(0)
	v_lshrrev_b32_e32 v51, 16, v15
	s_waitcnt vmcnt(0)
	v_mul_f16_sdwa v52, v15, v48 dst_sel:DWORD dst_unused:UNUSED_PAD src0_sel:DWORD src1_sel:WORD_1
	v_fma_f16 v52, v51, v48, v52
	v_mul_f16_sdwa v51, v51, v48 dst_sel:DWORD dst_unused:UNUSED_PAD src0_sel:DWORD src1_sel:WORD_1
	v_fma_f16 v15, v15, v48, -v51
	global_load_dword v48, v14, s[2:3] offset:256
	v_lshrrev_b32_e32 v51, 16, v16
	v_pack_b32_f16 v15, v15, v52
	s_waitcnt vmcnt(0)
	v_mul_f16_sdwa v53, v51, v48 dst_sel:DWORD dst_unused:UNUSED_PAD src0_sel:DWORD src1_sel:WORD_1
	v_fma_f16 v53, v16, v48, -v53
	v_mul_f16_sdwa v16, v16, v48 dst_sel:DWORD dst_unused:UNUSED_PAD src0_sel:DWORD src1_sel:WORD_1
	v_fma_f16 v16, v51, v48, v16
	v_pack_b32_f16 v16, v53, v16
	ds_write2_b32 v18, v17, v47 offset0:16 offset1:32
	ds_write2_b32 v18, v15, v16 offset0:48 offset1:64
	s_and_saveexec_b64 s[4:5], vcc
	s_cbranch_execz .LBB0_9
; %bb.8:
	v_add_co_u32_e64 v14, s[0:1], s2, v14
	v_mov_b32_e32 v15, s3
	v_addc_co_u32_e64 v15, s[0:1], 0, v15, s[0:1]
	global_load_dword v48, v[14:15], off offset:40
	ds_read2_b32 v[16:17], v18 offset0:10 offset1:26
	s_waitcnt lgkmcnt(0)
	v_lshrrev_b32_e32 v47, 16, v16
	s_waitcnt vmcnt(0)
	v_mul_f16_sdwa v49, v47, v48 dst_sel:DWORD dst_unused:UNUSED_PAD src0_sel:DWORD src1_sel:WORD_1
	v_fma_f16 v49, v16, v48, -v49
	v_mul_f16_sdwa v16, v16, v48 dst_sel:DWORD dst_unused:UNUSED_PAD src0_sel:DWORD src1_sel:WORD_1
	v_fma_f16 v16, v47, v48, v16
	global_load_dword v48, v[14:15], off offset:104
	v_lshrrev_b32_e32 v47, 16, v17
	v_pack_b32_f16 v16, v49, v16
	s_waitcnt vmcnt(0)
	v_mul_f16_sdwa v49, v47, v48 dst_sel:DWORD dst_unused:UNUSED_PAD src0_sel:DWORD src1_sel:WORD_1
	v_fma_f16 v49, v17, v48, -v49
	v_mul_f16_sdwa v17, v17, v48 dst_sel:DWORD dst_unused:UNUSED_PAD src0_sel:DWORD src1_sel:WORD_1
	v_fma_f16 v17, v47, v48, v17
	global_load_dword v48, v[14:15], off offset:168
	v_pack_b32_f16 v17, v49, v17
	ds_write2_b32 v18, v16, v17 offset0:10 offset1:26
	ds_read2_b32 v[16:17], v18 offset0:42 offset1:58
	s_waitcnt lgkmcnt(0)
	v_lshrrev_b32_e32 v47, 16, v16
	s_waitcnt vmcnt(0)
	v_mul_f16_sdwa v49, v47, v48 dst_sel:DWORD dst_unused:UNUSED_PAD src0_sel:DWORD src1_sel:WORD_1
	v_fma_f16 v49, v16, v48, -v49
	v_mul_f16_sdwa v16, v16, v48 dst_sel:DWORD dst_unused:UNUSED_PAD src0_sel:DWORD src1_sel:WORD_1
	v_fma_f16 v16, v47, v48, v16
	global_load_dword v48, v[14:15], off offset:232
	v_lshrrev_b32_e32 v47, 16, v17
	global_load_dword v14, v[14:15], off offset:296
	v_pack_b32_f16 v16, v49, v16
	s_waitcnt vmcnt(1)
	v_mul_f16_sdwa v49, v47, v48 dst_sel:DWORD dst_unused:UNUSED_PAD src0_sel:DWORD src1_sel:WORD_1
	v_fma_f16 v49, v17, v48, -v49
	v_mul_f16_sdwa v17, v17, v48 dst_sel:DWORD dst_unused:UNUSED_PAD src0_sel:DWORD src1_sel:WORD_1
	v_fma_f16 v17, v47, v48, v17
	v_pack_b32_f16 v17, v49, v17
	ds_write2_b32 v18, v16, v17 offset0:42 offset1:58
	ds_read_b32 v16, v18 offset:296
	s_waitcnt lgkmcnt(0)
	v_lshrrev_b32_e32 v17, 16, v16
	s_waitcnt vmcnt(0)
	v_mul_f16_sdwa v15, v17, v14 dst_sel:DWORD dst_unused:UNUSED_PAD src0_sel:DWORD src1_sel:WORD_1
	v_fma_f16 v15, v16, v14, -v15
	v_mul_f16_sdwa v16, v16, v14 dst_sel:DWORD dst_unused:UNUSED_PAD src0_sel:DWORD src1_sel:WORD_1
	v_fma_f16 v14, v17, v14, v16
	v_pack_b32_f16 v14, v15, v14
	ds_write_b32 v18, v14 offset:296
.LBB0_9:
	s_or_b64 exec, exec, s[4:5]
	s_waitcnt lgkmcnt(0)
	; wave barrier
	s_waitcnt lgkmcnt(0)
	ds_read_b32 v47, v29
	ds_read2_b32 v[14:15], v18 offset0:16 offset1:32
	ds_read2_b32 v[16:17], v18 offset0:48 offset1:64
	s_and_saveexec_b64 s[0:1], vcc
	s_cbranch_execz .LBB0_11
; %bb.10:
	v_lshlrev_b32_e32 v10, 2, v30
	v_lshl_add_u32 v10, v26, 2, v10
	ds_read_b32 v43, v18 offset:40
	ds_read2_b32 v[12:13], v10 offset0:26 offset1:42
	ds_read2_b32 v[10:11], v10 offset0:58 offset1:74
	s_waitcnt lgkmcnt(2)
	v_lshrrev_b32_e32 v44, 16, v43
	s_waitcnt lgkmcnt(1)
	v_lshrrev_b32_e32 v46, 16, v12
	v_lshrrev_b32_e32 v45, 16, v13
	s_waitcnt lgkmcnt(0)
	v_lshrrev_b32_e32 v34, 16, v10
	v_lshrrev_b32_e32 v33, 16, v11
.LBB0_11:
	s_or_b64 exec, exec, s[0:1]
	s_waitcnt lgkmcnt(0)
	v_pk_add_f16 v49, v15, v16
	v_pk_add_f16 v50, v14, v17 neg_lo:[0,1] neg_hi:[0,1]
	s_movk_i32 s2, 0x3b9c
	v_pk_fma_f16 v49, v49, 0.5, v47 op_sel_hi:[1,0,1] neg_lo:[1,0,0] neg_hi:[1,0,0]
	v_pk_mul_f16 v51, v50, s2 op_sel_hi:[1,0]
	v_pk_add_f16 v52, v15, v16 neg_lo:[0,1] neg_hi:[0,1]
	s_movk_i32 s3, 0x38b4
	v_pk_add_f16 v54, v14, v15 neg_lo:[0,1] neg_hi:[0,1]
	v_pk_add_f16 v55, v17, v16 neg_lo:[0,1] neg_hi:[0,1]
	v_pk_add_f16 v48, v47, v14
	v_pk_mul_f16 v53, v52, s3 op_sel_hi:[1,0]
	v_pk_add_f16 v54, v54, v55
	v_pk_add_f16 v55, v49, v51 op_sel:[0,1] op_sel_hi:[1,0] neg_lo:[0,1] neg_hi:[0,1]
	v_pk_add_f16 v49, v49, v51 op_sel:[0,1] op_sel_hi:[1,0]
	v_pk_add_f16 v48, v48, v15
	v_pk_add_f16 v51, v55, v53 op_sel:[0,1] op_sel_hi:[1,0] neg_lo:[0,1] neg_hi:[0,1]
	s_mov_b32 s0, 0xffff
	v_pk_add_f16 v49, v49, v53 op_sel:[0,1] op_sel_hi:[1,0]
	v_pk_add_f16 v48, v48, v16
	v_bfi_b32 v53, s0, v51, v49
	s_movk_i32 s4, 0x34f2
	v_pk_add_f16 v48, v48, v17
	v_pk_fma_f16 v53, v54, s4, v53 op_sel_hi:[1,0,1]
	s_waitcnt lgkmcnt(0)
	; wave barrier
	ds_write2_b32 v32, v48, v53 offset1:1
	v_pk_add_f16 v48, v14, v17
	v_pk_add_f16 v14, v15, v14 neg_lo:[0,1] neg_hi:[0,1]
	v_pk_add_f16 v15, v16, v17 neg_lo:[0,1] neg_hi:[0,1]
	v_pk_fma_f16 v47, v48, 0.5, v47 op_sel_hi:[1,0,1] neg_lo:[1,0,0] neg_hi:[1,0,0]
	v_pk_add_f16 v14, v14, v15
	v_pk_mul_f16 v15, v52, s2 op_sel_hi:[1,0]
	v_pk_mul_f16 v16, v50, s3 op_sel_hi:[1,0]
	v_pk_add_f16 v17, v47, v15 op_sel:[0,1] op_sel_hi:[1,0]
	v_pk_add_f16 v15, v47, v15 op_sel:[0,1] op_sel_hi:[1,0] neg_lo:[0,1] neg_hi:[0,1]
	v_pk_add_f16 v17, v17, v16 op_sel:[0,1] op_sel_hi:[1,0] neg_lo:[0,1] neg_hi:[0,1]
	v_pk_add_f16 v15, v15, v16 op_sel:[0,1] op_sel_hi:[1,0]
	v_bfi_b32 v16, s0, v17, v15
	v_bfi_b32 v15, s0, v15, v17
	v_pk_fma_f16 v16, v14, s4, v16 op_sel_hi:[1,0,1]
	v_pk_fma_f16 v14, v14, s4, v15 op_sel_hi:[1,0,1]
	ds_write2_b32 v32, v16, v14 offset0:2 offset1:3
	v_bfi_b32 v14, s0, v49, v51
	v_pk_fma_f16 v14, v54, s4, v14 op_sel_hi:[1,0,1]
	ds_write_b32 v32, v14 offset:16
	s_and_saveexec_b64 s[0:1], vcc
	s_cbranch_execz .LBB0_13
; %bb.12:
	v_sub_f16_e32 v14, v45, v46
	v_sub_f16_e32 v15, v34, v33
	;; [unrolled: 1-line block ×4, first 2 shown]
	v_add_f16_e32 v14, v15, v14
	v_sub_f16_e32 v15, v12, v11
	v_add_f16_e32 v47, v48, v47
	v_add_f16_e32 v48, v11, v12
	v_sub_f16_e32 v52, v46, v45
	v_sub_f16_e32 v53, v33, v34
	;; [unrolled: 1-line block ×4, first 2 shown]
	v_add_f16_e32 v12, v12, v43
	v_add_f16_e32 v16, v33, v46
	;; [unrolled: 1-line block ×7, first 2 shown]
	v_fma_f16 v16, v16, -0.5, v44
	v_sub_f16_e32 v17, v13, v10
	s_mov_b32 s5, 0xbb9c
	v_sub_f16_e32 v51, v46, v33
	v_fma_f16 v53, v53, -0.5, v44
	v_fma_f16 v56, v56, -0.5, v43
	v_add_f16_e32 v44, v46, v44
	v_add_f16_e32 v10, v10, v12
	v_fma_f16 v32, v17, s5, v16
	v_fma_f16 v48, v48, -0.5, v43
	v_sub_f16_e32 v49, v45, v34
	s_mov_b32 s12, 0xb8b4
	v_fma_f16 v54, v15, s2, v53
	v_fma_f16 v57, v51, s5, v56
	v_add_f16_e32 v44, v45, v44
	v_add_f16_e32 v10, v11, v10
	v_fma_f16 v11, v17, s2, v16
	v_fma_f16 v32, v15, s3, v32
	v_fma_f16 v50, v49, s2, v48
	v_fma_f16 v54, v17, s3, v54
	v_fma_f16 v57, v49, s12, v57
	v_add_f16_e32 v34, v34, v44
	v_fma_f16 v11, v15, s12, v11
	v_fma_f16 v13, v49, s5, v48
	;; [unrolled: 1-line block ×6, first 2 shown]
	v_add_f16_e32 v33, v33, v34
	v_fma_f16 v11, v14, s4, v11
	v_fma_f16 v12, v15, s5, v53
	;; [unrolled: 1-line block ×8, first 2 shown]
	v_add_lshl_u32 v15, v30, v31, 2
	v_pack_b32_f16 v16, v57, v54
	v_pack_b32_f16 v10, v10, v33
	v_fma_f16 v12, v52, s4, v12
	v_fma_f16 v14, v55, s4, v14
	ds_write2_b32 v15, v10, v16 offset1:1
	v_pack_b32_f16 v10, v13, v11
	v_pack_b32_f16 v11, v50, v32
	ds_write2_b32 v15, v11, v10 offset0:2 offset1:3
	v_pack_b32_f16 v10, v14, v12
	ds_write_b32 v15, v10 offset:16
.LBB0_13:
	s_or_b64 exec, exec, s[0:1]
	s_waitcnt lgkmcnt(0)
	; wave barrier
	s_waitcnt lgkmcnt(0)
	ds_read_b32 v16, v29
	ds_read2_b32 v[10:11], v18 offset0:30 offset1:40
	ds_read2_b32 v[12:13], v18 offset0:10 offset1:20
	;; [unrolled: 1-line block ×3, first 2 shown]
	ds_read_b32 v17, v18 offset:280
	s_waitcnt lgkmcnt(4)
	v_lshrrev_b32_e32 v30, 16, v16
	s_waitcnt lgkmcnt(3)
	v_lshrrev_b32_e32 v31, 16, v11
	v_mul_f16_sdwa v46, v39, v31 dst_sel:DWORD dst_unused:UNUSED_PAD src0_sel:WORD_1 src1_sel:DWORD
	s_waitcnt lgkmcnt(1)
	v_lshrrev_b32_e32 v33, 16, v14
	v_fma_f16 v46, v39, v11, v46
	v_mul_f16_sdwa v11, v39, v11 dst_sel:DWORD dst_unused:UNUSED_PAD src0_sel:WORD_1 src1_sel:DWORD
	v_fma_f16 v11, v39, v31, -v11
	v_mul_f16_sdwa v31, v36, v33 dst_sel:DWORD dst_unused:UNUSED_PAD src0_sel:WORD_1 src1_sel:DWORD
	v_lshrrev_b32_e32 v43, 16, v15
	v_fma_f16 v31, v36, v14, v31
	v_mul_f16_sdwa v14, v36, v14 dst_sel:DWORD dst_unused:UNUSED_PAD src0_sel:WORD_1 src1_sel:DWORD
	v_fma_f16 v14, v36, v33, -v14
	v_mul_f16_sdwa v33, v35, v43 dst_sel:DWORD dst_unused:UNUSED_PAD src0_sel:WORD_1 src1_sel:DWORD
	s_waitcnt lgkmcnt(0)
	v_lshrrev_b32_e32 v45, 16, v17
	v_fma_f16 v33, v35, v15, v33
	v_mul_f16_sdwa v15, v35, v15 dst_sel:DWORD dst_unused:UNUSED_PAD src0_sel:WORD_1 src1_sel:DWORD
	v_lshrrev_b32_e32 v32, 16, v12
	v_fma_f16 v15, v35, v43, -v15
	v_mul_f16_sdwa v35, v37, v45 dst_sel:DWORD dst_unused:UNUSED_PAD src0_sel:WORD_1 src1_sel:DWORD
	v_sub_f16_e32 v36, v16, v46
	v_sub_f16_e32 v11, v30, v11
	v_lshrrev_b32_e32 v34, 16, v13
	v_fma_f16 v35, v37, v17, v35
	v_mul_f16_sdwa v17, v37, v17 dst_sel:DWORD dst_unused:UNUSED_PAD src0_sel:WORD_1 src1_sel:DWORD
	v_fma_f16 v16, v16, 2.0, -v36
	v_fma_f16 v30, v30, 2.0, -v11
	v_sub_f16_e32 v31, v12, v31
	v_sub_f16_e32 v14, v32, v14
	v_lshrrev_b32_e32 v44, 16, v10
	v_fma_f16 v17, v37, v45, -v17
	v_fma_f16 v12, v12, 2.0, -v31
	v_fma_f16 v32, v32, 2.0, -v14
	v_sub_f16_e32 v33, v13, v33
	v_sub_f16_e32 v15, v34, v15
	v_pack_b32_f16 v16, v16, v30
	v_pack_b32_f16 v11, v36, v11
	v_fma_f16 v13, v13, 2.0, -v33
	v_fma_f16 v34, v34, 2.0, -v15
	v_sub_f16_e32 v35, v10, v35
	v_sub_f16_e32 v17, v44, v17
	s_waitcnt lgkmcnt(0)
	; wave barrier
	ds_write2_b32 v38, v16, v11 offset1:5
	v_pack_b32_f16 v11, v12, v32
	v_pack_b32_f16 v12, v31, v14
	v_fma_f16 v10, v10, 2.0, -v35
	v_fma_f16 v37, v44, 2.0, -v17
	ds_write2_b32 v40, v11, v12 offset1:5
	v_pack_b32_f16 v11, v13, v34
	v_pack_b32_f16 v12, v33, v15
	ds_write2_b32 v41, v11, v12 offset1:5
	v_pack_b32_f16 v10, v10, v37
	v_pack_b32_f16 v11, v35, v17
	ds_write2_b32 v42, v10, v11 offset1:5
	s_waitcnt lgkmcnt(0)
	; wave barrier
	s_waitcnt lgkmcnt(0)
	ds_read_b32 v16, v29
	ds_read2_b32 v[10:11], v18 offset0:10 offset1:20
	ds_read2_b32 v[12:13], v18 offset0:30 offset1:40
	ds_read_b32 v17, v18 offset:280
	ds_read2_b32 v[14:15], v18 offset0:50 offset1:60
	s_waitcnt lgkmcnt(4)
	v_lshrrev_b32_e32 v30, 16, v16
	s_waitcnt lgkmcnt(3)
	v_lshrrev_b32_e32 v31, 16, v10
	v_mul_f16_sdwa v38, v0, v31 dst_sel:DWORD dst_unused:UNUSED_PAD src0_sel:WORD_1 src1_sel:DWORD
	v_lshrrev_b32_e32 v32, 16, v11
	v_fma_f16 v38, v0, v10, v38
	v_mul_f16_sdwa v10, v0, v10 dst_sel:DWORD dst_unused:UNUSED_PAD src0_sel:WORD_1 src1_sel:DWORD
	v_fma_f16 v0, v0, v31, -v10
	v_mul_f16_sdwa v10, v1, v32 dst_sel:DWORD dst_unused:UNUSED_PAD src0_sel:WORD_1 src1_sel:DWORD
	s_waitcnt lgkmcnt(2)
	v_lshrrev_b32_e32 v33, 16, v12
	v_fma_f16 v10, v1, v11, v10
	v_mul_f16_sdwa v11, v1, v11 dst_sel:DWORD dst_unused:UNUSED_PAD src0_sel:WORD_1 src1_sel:DWORD
	v_fma_f16 v1, v1, v32, -v11
	v_mul_f16_sdwa v11, v2, v33 dst_sel:DWORD dst_unused:UNUSED_PAD src0_sel:WORD_1 src1_sel:DWORD
	v_lshrrev_b32_e32 v34, 16, v13
	v_fma_f16 v11, v2, v12, v11
	v_mul_f16_sdwa v12, v2, v12 dst_sel:DWORD dst_unused:UNUSED_PAD src0_sel:WORD_1 src1_sel:DWORD
	v_fma_f16 v2, v2, v33, -v12
	v_mul_f16_sdwa v12, v3, v34 dst_sel:DWORD dst_unused:UNUSED_PAD src0_sel:WORD_1 src1_sel:DWORD
	s_waitcnt lgkmcnt(0)
	v_lshrrev_b32_e32 v35, 16, v14
	v_fma_f16 v12, v3, v13, v12
	v_mul_f16_sdwa v13, v3, v13 dst_sel:DWORD dst_unused:UNUSED_PAD src0_sel:WORD_1 src1_sel:DWORD
	v_fma_f16 v3, v3, v34, -v13
	v_mul_f16_sdwa v13, v4, v35 dst_sel:DWORD dst_unused:UNUSED_PAD src0_sel:WORD_1 src1_sel:DWORD
	v_lshrrev_b32_e32 v36, 16, v15
	v_fma_f16 v13, v4, v14, v13
	v_mul_f16_sdwa v14, v4, v14 dst_sel:DWORD dst_unused:UNUSED_PAD src0_sel:WORD_1 src1_sel:DWORD
	v_fma_f16 v4, v4, v35, -v14
	v_mul_f16_sdwa v14, v5, v36 dst_sel:DWORD dst_unused:UNUSED_PAD src0_sel:WORD_1 src1_sel:DWORD
	;; [unrolled: 5-line block ×3, first 2 shown]
	v_fma_f16 v15, v6, v17, v15
	v_mul_f16_sdwa v17, v6, v17 dst_sel:DWORD dst_unused:UNUSED_PAD src0_sel:WORD_1 src1_sel:DWORD
	v_fma_f16 v6, v6, v37, -v17
	v_sub_f16_e32 v12, v16, v12
	v_sub_f16_e32 v3, v30, v3
	;; [unrolled: 1-line block ×8, first 2 shown]
	v_fma_f16 v16, v16, 2.0, -v12
	v_fma_f16 v17, v30, 2.0, -v3
	;; [unrolled: 1-line block ×8, first 2 shown]
	v_add_f16_e32 v5, v12, v5
	v_sub_f16_e32 v14, v3, v14
	v_add_f16_e32 v6, v13, v6
	v_sub_f16_e32 v15, v4, v15
	v_sub_f16_e32 v10, v16, v10
	;; [unrolled: 1-line block ×3, first 2 shown]
	v_fma_f16 v12, v12, 2.0, -v5
	v_fma_f16 v3, v3, 2.0, -v14
	v_sub_f16_e32 v11, v30, v11
	v_sub_f16_e32 v2, v0, v2
	v_fma_f16 v13, v13, 2.0, -v6
	v_fma_f16 v4, v4, 2.0, -v15
	s_mov_b32 s0, 0xb9a8
	v_fma_f16 v16, v16, 2.0, -v10
	v_fma_f16 v17, v17, 2.0, -v1
	;; [unrolled: 1-line block ×4, first 2 shown]
	v_fma_f16 v31, v13, s0, v12
	v_fma_f16 v32, v4, s0, v3
	s_movk_i32 s1, 0x39a8
	v_sub_f16_e32 v30, v16, v30
	v_sub_f16_e32 v0, v17, v0
	v_fma_f16 v4, v4, s1, v31
	v_fma_f16 v13, v13, s0, v32
	v_add_f16_e32 v2, v10, v2
	v_sub_f16_e32 v11, v1, v11
	v_fma_f16 v31, v6, s1, v5
	v_fma_f16 v32, v15, s1, v14
	v_fma_f16 v16, v16, 2.0, -v30
	v_fma_f16 v17, v17, 2.0, -v0
	;; [unrolled: 1-line block ×6, first 2 shown]
	v_fma_f16 v15, v15, s1, v31
	v_fma_f16 v6, v6, s0, v32
	v_fma_f16 v5, v5, 2.0, -v15
	v_fma_f16 v14, v14, 2.0, -v6
	v_pack_b32_f16 v16, v16, v17
	v_pack_b32_f16 v3, v12, v3
	;; [unrolled: 1-line block ×3, first 2 shown]
	ds_write_b32 v29, v16
	ds_write2_b32 v18, v3, v1 offset0:10 offset1:20
	v_pack_b32_f16 v1, v5, v14
	v_pack_b32_f16 v0, v30, v0
	ds_write2_b32 v18, v1, v0 offset0:30 offset1:40
	v_pack_b32_f16 v0, v4, v13
	v_pack_b32_f16 v1, v2, v11
	ds_write2_b32 v18, v0, v1 offset0:50 offset1:60
	v_pack_b32_f16 v0, v15, v6
	ds_write_b32 v18, v0 offset:280
	s_waitcnt lgkmcnt(0)
	; wave barrier
	s_waitcnt lgkmcnt(0)
	ds_read_b32 v6, v29
	s_mov_b32 s12, 0x9999999a
	s_mov_b32 s13, 0x3f899999
	s_movk_i32 s14, 0x40f
	s_mov_b32 s15, 0x8000
	s_waitcnt lgkmcnt(0)
	v_lshrrev_b32_e32 v10, 16, v6
	v_mul_f16_sdwa v0, v28, v10 dst_sel:DWORD dst_unused:UNUSED_PAD src0_sel:WORD_1 src1_sel:DWORD
	v_fma_f16 v0, v28, v6, v0
	v_cvt_f32_f16_e32 v2, v0
	v_mad_u64_u32 v[0:1], s[0:1], s10, v9, 0
	s_movk_i32 s10, 0x1ff
	v_cvt_f64_f32_e32 v[2:3], v2
	v_mul_f64 v[2:3], v[2:3], s[12:13]
	v_mad_u64_u32 v[4:5], s[0:1], s11, v9, v[1:2]
	v_and_or_b32 v2, v3, s10, v2
	v_cmp_ne_u32_e64 s[0:1], 0, v2
	v_mov_b32_e32 v1, v4
	v_cndmask_b32_e64 v2, 0, 1, s[0:1]
	v_lshrrev_b32_e32 v4, 8, v3
	s_movk_i32 s11, 0xffe
	v_and_or_b32 v9, v4, s11, v2
	v_bfe_u32 v4, v3, 20, 11
	v_sub_u32_e32 v5, 0x3f1, v4
	v_or_b32_e32 v2, 0x1000, v9
	v_med3_i32 v5, v5, 0, 13
	v_lshrrev_b32_e32 v11, v5, v2
	v_lshlrev_b32_e32 v5, v5, v11
	v_cmp_ne_u32_e64 s[0:1], v5, v2
	v_cndmask_b32_e64 v2, 0, 1, s[0:1]
	v_or_b32_e32 v2, v11, v2
	v_add_u32_e32 v11, 0xfffffc10, v4
	v_lshl_or_b32 v4, v11, 12, v9
	v_cmp_gt_i32_e64 s[0:1], 1, v11
	v_cndmask_b32_e64 v2, v4, v2, s[0:1]
	v_and_b32_e32 v4, 7, v2
	v_cmp_lt_i32_e64 s[0:1], 5, v4
	v_cmp_eq_u32_e64 s[2:3], 3, v4
	v_mul_f16_sdwa v4, v28, v6 dst_sel:DWORD dst_unused:UNUSED_PAD src0_sel:WORD_1 src1_sel:DWORD
	v_fma_f16 v4, v28, v10, -v4
	v_cvt_f32_f16_e32 v4, v4
	v_lshrrev_b32_e32 v2, 2, v2
	s_or_b64 s[0:1], s[2:3], s[0:1]
	v_addc_co_u32_e64 v6, s[0:1], 0, v2, s[0:1]
	v_cvt_f64_f32_e32 v[4:5], v4
	v_mov_b32_e32 v2, 0x7c00
	v_cmp_gt_i32_e64 s[0:1], 31, v11
	v_cndmask_b32_e64 v6, v2, v6, s[0:1]
	v_mul_f64 v[4:5], v[4:5], s[12:13]
	v_cmp_ne_u32_e64 s[0:1], 0, v9
	v_cndmask_b32_e64 v9, 0, 1, s[0:1]
	v_lshl_or_b32 v9, v9, 9, v2
	v_cmp_eq_u32_e64 s[0:1], s14, v11
	v_cndmask_b32_e64 v6, v6, v9, s[0:1]
	v_lshrrev_b32_e32 v3, 16, v3
	v_and_or_b32 v6, v3, s15, v6
	v_and_or_b32 v3, v5, s10, v4
	v_cmp_ne_u32_e64 s[0:1], 0, v3
	v_cndmask_b32_e64 v3, 0, 1, s[0:1]
	v_lshrrev_b32_e32 v4, 8, v5
	v_bfe_u32 v9, v5, 20, 11
	v_and_or_b32 v3, v4, s11, v3
	v_sub_u32_e32 v10, 0x3f1, v9
	v_or_b32_e32 v4, 0x1000, v3
	v_med3_i32 v10, v10, 0, 13
	v_lshrrev_b32_e32 v11, v10, v4
	v_lshlrev_b32_e32 v10, v10, v11
	v_cmp_ne_u32_e64 s[0:1], v10, v4
	v_cndmask_b32_e64 v4, 0, 1, s[0:1]
	v_add_u32_e32 v9, 0xfffffc10, v9
	v_or_b32_e32 v4, v11, v4
	v_lshl_or_b32 v10, v9, 12, v3
	v_cmp_gt_i32_e64 s[0:1], 1, v9
	v_cndmask_b32_e64 v4, v10, v4, s[0:1]
	v_and_b32_e32 v10, 7, v4
	v_cmp_lt_i32_e64 s[0:1], 5, v10
	v_cmp_eq_u32_e64 s[2:3], 3, v10
	v_lshrrev_b32_e32 v4, 2, v4
	s_or_b64 s[0:1], s[2:3], s[0:1]
	v_addc_co_u32_e64 v4, s[0:1], 0, v4, s[0:1]
	v_cmp_gt_i32_e64 s[0:1], 31, v9
	v_cndmask_b32_e64 v10, v2, v4, s[0:1]
	v_cmp_ne_u32_e64 s[0:1], 0, v3
	v_cndmask_b32_e64 v3, 0, 1, s[0:1]
	v_lshl_or_b32 v11, v3, 9, v2
	v_mad_u64_u32 v[3:4], s[0:1], s8, v26, 0
	v_cmp_eq_u32_e64 s[0:1], s14, v9
	v_cndmask_b32_e64 v11, v10, v11, s[0:1]
	ds_read2_b32 v[9:10], v18 offset0:16 offset1:32
	v_lshrrev_b32_e32 v12, 16, v5
	v_mad_u64_u32 v[4:5], s[0:1], s9, v26, v[4:5]
	v_and_or_b32 v11, v12, s15, v11
	s_waitcnt lgkmcnt(0)
	v_lshrrev_b32_e32 v13, 16, v9
	v_mul_f16_sdwa v5, v27, v13 dst_sel:DWORD dst_unused:UNUSED_PAD src0_sel:WORD_1 src1_sel:DWORD
	v_fma_f16 v5, v27, v9, v5
	v_cvt_f32_f16_e32 v5, v5
	v_and_b32_e32 v12, 0xffff, v6
	v_lshlrev_b64 v[0:1], 2, v[0:1]
	v_lshl_or_b32 v11, v11, 16, v12
	v_cvt_f64_f32_e32 v[5:6], v5
	v_mov_b32_e32 v12, s7
	v_add_co_u32_e64 v14, s[0:1], s6, v0
	v_mul_f64 v[5:6], v[5:6], s[12:13]
	v_addc_co_u32_e64 v15, s[0:1], v12, v1, s[0:1]
	v_lshlrev_b64 v[0:1], 2, v[3:4]
	v_mul_f16_sdwa v9, v27, v9 dst_sel:DWORD dst_unused:UNUSED_PAD src0_sel:WORD_1 src1_sel:DWORD
	v_add_co_u32_e64 v0, s[0:1], v14, v0
	v_addc_co_u32_e64 v1, s[0:1], v15, v1, s[0:1]
	v_and_or_b32 v3, v6, s10, v5
	v_cmp_ne_u32_e64 s[0:1], 0, v3
	v_cndmask_b32_e64 v3, 0, 1, s[0:1]
	v_lshrrev_b32_e32 v4, 8, v6
	v_and_or_b32 v5, v4, s11, v3
	v_bfe_u32 v4, v6, 20, 11
	global_store_dword v[0:1], v11, off
	v_sub_u32_e32 v11, 0x3f1, v4
	v_or_b32_e32 v3, 0x1000, v5
	v_med3_i32 v11, v11, 0, 13
	v_lshrrev_b32_e32 v12, v11, v3
	v_lshlrev_b32_e32 v11, v11, v12
	v_cmp_ne_u32_e64 s[0:1], v11, v3
	v_fma_f16 v9, v27, v13, -v9
	v_cndmask_b32_e64 v3, 0, 1, s[0:1]
	v_add_u32_e32 v11, 0xfffffc10, v4
	v_cvt_f32_f16_e32 v9, v9
	v_or_b32_e32 v3, v12, v3
	v_lshl_or_b32 v4, v11, 12, v5
	v_cmp_gt_i32_e64 s[0:1], 1, v11
	v_cndmask_b32_e64 v3, v4, v3, s[0:1]
	v_and_b32_e32 v4, 7, v3
	v_cmp_lt_i32_e64 s[0:1], 5, v4
	v_cmp_eq_u32_e64 s[2:3], 3, v4
	v_lshrrev_b32_e32 v12, 2, v3
	v_cvt_f64_f32_e32 v[3:4], v9
	s_or_b64 s[0:1], s[2:3], s[0:1]
	v_addc_co_u32_e64 v9, s[0:1], 0, v12, s[0:1]
	v_mul_f64 v[3:4], v[3:4], s[12:13]
	v_cmp_gt_i32_e64 s[0:1], 31, v11
	v_cndmask_b32_e64 v9, v2, v9, s[0:1]
	v_cmp_ne_u32_e64 s[0:1], 0, v5
	v_cndmask_b32_e64 v5, 0, 1, s[0:1]
	v_lshl_or_b32 v5, v5, 9, v2
	v_cmp_eq_u32_e64 s[0:1], s14, v11
	v_cndmask_b32_e64 v5, v9, v5, s[0:1]
	v_and_or_b32 v3, v4, s10, v3
	v_lshrrev_b32_e32 v6, 16, v6
	v_cmp_ne_u32_e64 s[0:1], 0, v3
	v_and_or_b32 v9, v6, s15, v5
	v_cndmask_b32_e64 v3, 0, 1, s[0:1]
	v_lshrrev_b32_e32 v5, 8, v4
	v_bfe_u32 v6, v4, 20, 11
	v_and_or_b32 v3, v5, s11, v3
	v_sub_u32_e32 v11, 0x3f1, v6
	v_or_b32_e32 v5, 0x1000, v3
	v_med3_i32 v11, v11, 0, 13
	v_lshrrev_b32_e32 v12, v11, v5
	v_lshlrev_b32_e32 v11, v11, v12
	v_cmp_ne_u32_e64 s[0:1], v11, v5
	v_cndmask_b32_e64 v5, 0, 1, s[0:1]
	v_add_u32_e32 v11, 0xfffffc10, v6
	v_or_b32_e32 v5, v12, v5
	v_lshl_or_b32 v6, v11, 12, v3
	v_cmp_gt_i32_e64 s[0:1], 1, v11
	v_cndmask_b32_e64 v5, v6, v5, s[0:1]
	v_and_b32_e32 v6, 7, v5
	v_cmp_lt_i32_e64 s[0:1], 5, v6
	v_cmp_eq_u32_e64 s[2:3], 3, v6
	v_lshrrev_b32_e32 v5, 2, v5
	s_or_b64 s[0:1], s[2:3], s[0:1]
	v_addc_co_u32_e64 v5, s[0:1], 0, v5, s[0:1]
	v_cmp_gt_i32_e64 s[0:1], 31, v11
	v_cndmask_b32_e64 v12, v2, v5, s[0:1]
	v_cmp_ne_u32_e64 s[0:1], 0, v3
	v_cndmask_b32_e64 v3, 0, 1, s[0:1]
	v_mad_u64_u32 v[5:6], s[0:1], s8, v24, 0
	v_lshl_or_b32 v3, v3, 9, v2
	v_cmp_eq_u32_e64 s[0:1], s14, v11
	v_lshrrev_b32_e32 v16, 16, v10
	v_cndmask_b32_e64 v13, v12, v3, s[0:1]
	v_mov_b32_e32 v3, v6
	v_mul_f16_sdwa v6, v25, v16 dst_sel:DWORD dst_unused:UNUSED_PAD src0_sel:WORD_1 src1_sel:DWORD
	v_fma_f16 v6, v25, v10, v6
	v_cvt_f32_f16_e32 v6, v6
	v_mad_u64_u32 v[11:12], s[0:1], s9, v24, v[3:4]
	v_lshrrev_b32_e32 v12, 16, v4
	v_cvt_f64_f32_e32 v[3:4], v6
	v_mov_b32_e32 v6, v11
	v_lshlrev_b64 v[5:6], 2, v[5:6]
	v_and_or_b32 v12, v12, s15, v13
	v_mul_f64 v[3:4], v[3:4], s[12:13]
	v_add_co_u32_e64 v5, s[0:1], v14, v5
	v_and_b32_e32 v9, 0xffff, v9
	v_addc_co_u32_e64 v6, s[0:1], v15, v6, s[0:1]
	v_lshl_or_b32 v9, v12, 16, v9
	global_store_dword v[5:6], v9, off
	v_and_or_b32 v3, v4, s10, v3
	v_cmp_ne_u32_e64 s[0:1], 0, v3
	v_cndmask_b32_e64 v3, 0, 1, s[0:1]
	v_lshrrev_b32_e32 v5, 8, v4
	v_bfe_u32 v6, v4, 20, 11
	v_and_or_b32 v3, v5, s11, v3
	v_sub_u32_e32 v9, 0x3f1, v6
	v_or_b32_e32 v5, 0x1000, v3
	v_med3_i32 v9, v9, 0, 13
	v_lshrrev_b32_e32 v11, v9, v5
	v_lshlrev_b32_e32 v9, v9, v11
	v_mul_f16_sdwa v10, v25, v10 dst_sel:DWORD dst_unused:UNUSED_PAD src0_sel:WORD_1 src1_sel:DWORD
	v_cmp_ne_u32_e64 s[0:1], v9, v5
	v_fma_f16 v10, v25, v16, -v10
	v_cndmask_b32_e64 v5, 0, 1, s[0:1]
	v_add_u32_e32 v9, 0xfffffc10, v6
	v_cvt_f32_f16_e32 v10, v10
	v_or_b32_e32 v5, v11, v5
	v_lshl_or_b32 v6, v9, 12, v3
	v_cmp_gt_i32_e64 s[0:1], 1, v9
	v_cndmask_b32_e64 v5, v6, v5, s[0:1]
	v_and_b32_e32 v6, 7, v5
	v_cmp_lt_i32_e64 s[0:1], 5, v6
	v_cmp_eq_u32_e64 s[2:3], 3, v6
	v_lshrrev_b32_e32 v11, 2, v5
	v_cvt_f64_f32_e32 v[5:6], v10
	s_or_b64 s[0:1], s[2:3], s[0:1]
	v_addc_co_u32_e64 v10, s[0:1], 0, v11, s[0:1]
	v_mul_f64 v[5:6], v[5:6], s[12:13]
	v_cmp_gt_i32_e64 s[0:1], 31, v9
	v_cndmask_b32_e64 v10, v2, v10, s[0:1]
	v_cmp_ne_u32_e64 s[0:1], 0, v3
	v_cndmask_b32_e64 v3, 0, 1, s[0:1]
	v_lshl_or_b32 v3, v3, 9, v2
	v_cmp_eq_u32_e64 s[0:1], s14, v9
	v_cndmask_b32_e64 v3, v10, v3, s[0:1]
	v_lshrrev_b32_e32 v4, 16, v4
	v_and_or_b32 v11, v4, s15, v3
	v_and_or_b32 v3, v6, s10, v5
	v_cmp_ne_u32_e64 s[0:1], 0, v3
	v_cndmask_b32_e64 v3, 0, 1, s[0:1]
	v_lshrrev_b32_e32 v4, 8, v6
	v_bfe_u32 v5, v6, 20, 11
	v_and_or_b32 v3, v4, s11, v3
	v_sub_u32_e32 v9, 0x3f1, v5
	v_or_b32_e32 v4, 0x1000, v3
	v_med3_i32 v9, v9, 0, 13
	v_lshrrev_b32_e32 v10, v9, v4
	v_lshlrev_b32_e32 v9, v9, v10
	v_cmp_ne_u32_e64 s[0:1], v9, v4
	v_cndmask_b32_e64 v4, 0, 1, s[0:1]
	v_add_u32_e32 v5, 0xfffffc10, v5
	v_or_b32_e32 v4, v10, v4
	v_lshl_or_b32 v9, v5, 12, v3
	v_cmp_gt_i32_e64 s[0:1], 1, v5
	v_cndmask_b32_e64 v4, v9, v4, s[0:1]
	v_and_b32_e32 v9, 7, v4
	v_cmp_lt_i32_e64 s[0:1], 5, v9
	v_cmp_eq_u32_e64 s[2:3], 3, v9
	v_lshrrev_b32_e32 v4, 2, v4
	s_or_b64 s[0:1], s[2:3], s[0:1]
	v_addc_co_u32_e64 v4, s[0:1], 0, v4, s[0:1]
	ds_read2_b32 v[9:10], v18 offset0:48 offset1:64
	v_cmp_gt_i32_e64 s[0:1], 31, v5
	v_cndmask_b32_e64 v12, v2, v4, s[0:1]
	v_cmp_ne_u32_e64 s[0:1], 0, v3
	v_cndmask_b32_e64 v13, 0, 1, s[0:1]
	v_mad_u64_u32 v[3:4], s[0:1], s8, v22, 0
	v_lshl_or_b32 v13, v13, 9, v2
	v_cmp_eq_u32_e64 s[0:1], s14, v5
	v_cndmask_b32_e64 v12, v12, v13, s[0:1]
	s_waitcnt lgkmcnt(0)
	v_lshrrev_b32_e32 v13, 16, v9
	v_mul_f16_sdwa v5, v23, v13 dst_sel:DWORD dst_unused:UNUSED_PAD src0_sel:WORD_1 src1_sel:DWORD
	v_fma_f16 v5, v23, v9, v5
	v_cvt_f32_f16_e32 v16, v5
	v_mad_u64_u32 v[4:5], s[0:1], s9, v22, v[4:5]
	v_lshrrev_b32_e32 v17, 16, v6
	v_cvt_f64_f32_e32 v[5:6], v16
	v_lshlrev_b64 v[3:4], 2, v[3:4]
	v_and_or_b32 v12, v17, s15, v12
	v_and_b32_e32 v11, 0xffff, v11
	v_mul_f64 v[5:6], v[5:6], s[12:13]
	v_add_co_u32_e64 v3, s[0:1], v14, v3
	v_lshl_or_b32 v11, v12, 16, v11
	v_addc_co_u32_e64 v4, s[0:1], v15, v4, s[0:1]
	global_store_dword v[3:4], v11, off
	v_mul_f16_sdwa v9, v23, v9 dst_sel:DWORD dst_unused:UNUSED_PAD src0_sel:WORD_1 src1_sel:DWORD
	v_and_or_b32 v3, v6, s10, v5
	v_cmp_ne_u32_e64 s[0:1], 0, v3
	v_cndmask_b32_e64 v3, 0, 1, s[0:1]
	v_lshrrev_b32_e32 v4, 8, v6
	v_and_or_b32 v5, v4, s11, v3
	v_bfe_u32 v4, v6, 20, 11
	v_sub_u32_e32 v11, 0x3f1, v4
	v_or_b32_e32 v3, 0x1000, v5
	v_med3_i32 v11, v11, 0, 13
	v_lshrrev_b32_e32 v12, v11, v3
	v_lshlrev_b32_e32 v11, v11, v12
	v_cmp_ne_u32_e64 s[0:1], v11, v3
	v_fma_f16 v9, v23, v13, -v9
	v_cndmask_b32_e64 v3, 0, 1, s[0:1]
	v_add_u32_e32 v11, 0xfffffc10, v4
	v_cvt_f32_f16_e32 v9, v9
	v_or_b32_e32 v3, v12, v3
	v_lshl_or_b32 v4, v11, 12, v5
	v_cmp_gt_i32_e64 s[0:1], 1, v11
	v_cndmask_b32_e64 v3, v4, v3, s[0:1]
	v_and_b32_e32 v4, 7, v3
	v_cmp_lt_i32_e64 s[0:1], 5, v4
	v_cmp_eq_u32_e64 s[2:3], 3, v4
	v_lshrrev_b32_e32 v12, 2, v3
	v_cvt_f64_f32_e32 v[3:4], v9
	s_or_b64 s[0:1], s[2:3], s[0:1]
	v_addc_co_u32_e64 v9, s[0:1], 0, v12, s[0:1]
	v_mul_f64 v[3:4], v[3:4], s[12:13]
	v_cmp_gt_i32_e64 s[0:1], 31, v11
	v_cndmask_b32_e64 v9, v2, v9, s[0:1]
	v_cmp_ne_u32_e64 s[0:1], 0, v5
	v_cndmask_b32_e64 v5, 0, 1, s[0:1]
	v_lshl_or_b32 v5, v5, 9, v2
	v_cmp_eq_u32_e64 s[0:1], s14, v11
	v_cndmask_b32_e64 v5, v9, v5, s[0:1]
	v_and_or_b32 v3, v4, s10, v3
	v_lshrrev_b32_e32 v6, 16, v6
	v_cmp_ne_u32_e64 s[0:1], 0, v3
	v_and_or_b32 v9, v6, s15, v5
	v_cndmask_b32_e64 v3, 0, 1, s[0:1]
	v_lshrrev_b32_e32 v5, 8, v4
	v_bfe_u32 v6, v4, 20, 11
	v_and_or_b32 v3, v5, s11, v3
	v_sub_u32_e32 v11, 0x3f1, v6
	v_or_b32_e32 v5, 0x1000, v3
	v_med3_i32 v11, v11, 0, 13
	v_lshrrev_b32_e32 v12, v11, v5
	v_lshlrev_b32_e32 v11, v11, v12
	v_cmp_ne_u32_e64 s[0:1], v11, v5
	v_cndmask_b32_e64 v5, 0, 1, s[0:1]
	v_add_u32_e32 v11, 0xfffffc10, v6
	v_or_b32_e32 v5, v12, v5
	v_lshl_or_b32 v6, v11, 12, v3
	v_cmp_gt_i32_e64 s[0:1], 1, v11
	v_cndmask_b32_e64 v5, v6, v5, s[0:1]
	v_and_b32_e32 v6, 7, v5
	v_cmp_lt_i32_e64 s[0:1], 5, v6
	v_cmp_eq_u32_e64 s[2:3], 3, v6
	v_lshrrev_b32_e32 v5, 2, v5
	s_or_b64 s[0:1], s[2:3], s[0:1]
	v_addc_co_u32_e64 v5, s[0:1], 0, v5, s[0:1]
	v_cmp_gt_i32_e64 s[0:1], 31, v11
	v_cndmask_b32_e64 v12, v2, v5, s[0:1]
	v_cmp_ne_u32_e64 s[0:1], 0, v3
	v_cndmask_b32_e64 v3, 0, 1, s[0:1]
	v_mad_u64_u32 v[5:6], s[0:1], s8, v20, 0
	v_lshl_or_b32 v3, v3, 9, v2
	v_cmp_eq_u32_e64 s[0:1], s14, v11
	v_lshrrev_b32_e32 v16, 16, v10
	v_cndmask_b32_e64 v13, v12, v3, s[0:1]
	v_mov_b32_e32 v3, v6
	v_mul_f16_sdwa v6, v21, v16 dst_sel:DWORD dst_unused:UNUSED_PAD src0_sel:WORD_1 src1_sel:DWORD
	v_fma_f16 v6, v21, v10, v6
	v_cvt_f32_f16_e32 v6, v6
	v_mad_u64_u32 v[11:12], s[0:1], s9, v20, v[3:4]
	v_lshrrev_b32_e32 v12, 16, v4
	v_cvt_f64_f32_e32 v[3:4], v6
	v_mov_b32_e32 v6, v11
	v_lshlrev_b64 v[5:6], 2, v[5:6]
	v_and_or_b32 v12, v12, s15, v13
	v_mul_f64 v[3:4], v[3:4], s[12:13]
	v_add_co_u32_e64 v5, s[0:1], v14, v5
	v_and_b32_e32 v9, 0xffff, v9
	v_addc_co_u32_e64 v6, s[0:1], v15, v6, s[0:1]
	v_lshl_or_b32 v9, v12, 16, v9
	global_store_dword v[5:6], v9, off
	v_and_or_b32 v3, v4, s10, v3
	v_cmp_ne_u32_e64 s[0:1], 0, v3
	v_cndmask_b32_e64 v3, 0, 1, s[0:1]
	v_lshrrev_b32_e32 v5, 8, v4
	v_bfe_u32 v6, v4, 20, 11
	v_and_or_b32 v3, v5, s11, v3
	v_sub_u32_e32 v9, 0x3f1, v6
	v_or_b32_e32 v5, 0x1000, v3
	v_med3_i32 v9, v9, 0, 13
	v_lshrrev_b32_e32 v11, v9, v5
	v_lshlrev_b32_e32 v9, v9, v11
	v_mul_f16_sdwa v10, v21, v10 dst_sel:DWORD dst_unused:UNUSED_PAD src0_sel:WORD_1 src1_sel:DWORD
	v_cmp_ne_u32_e64 s[0:1], v9, v5
	v_fma_f16 v10, v21, v16, -v10
	v_cndmask_b32_e64 v5, 0, 1, s[0:1]
	v_add_u32_e32 v9, 0xfffffc10, v6
	v_cvt_f32_f16_e32 v10, v10
	v_or_b32_e32 v5, v11, v5
	v_lshl_or_b32 v6, v9, 12, v3
	v_cmp_gt_i32_e64 s[0:1], 1, v9
	v_cndmask_b32_e64 v5, v6, v5, s[0:1]
	v_and_b32_e32 v6, 7, v5
	v_cmp_lt_i32_e64 s[0:1], 5, v6
	v_cmp_eq_u32_e64 s[2:3], 3, v6
	v_lshrrev_b32_e32 v11, 2, v5
	v_cvt_f64_f32_e32 v[5:6], v10
	s_or_b64 s[0:1], s[2:3], s[0:1]
	v_addc_co_u32_e64 v10, s[0:1], 0, v11, s[0:1]
	v_mul_f64 v[5:6], v[5:6], s[12:13]
	v_cmp_gt_i32_e64 s[0:1], 31, v9
	v_cndmask_b32_e64 v10, v2, v10, s[0:1]
	v_cmp_ne_u32_e64 s[0:1], 0, v3
	v_cndmask_b32_e64 v3, 0, 1, s[0:1]
	v_lshl_or_b32 v3, v3, 9, v2
	v_cmp_eq_u32_e64 s[0:1], s14, v9
	v_cndmask_b32_e64 v3, v10, v3, s[0:1]
	v_lshrrev_b32_e32 v4, 16, v4
	v_and_or_b32 v9, v4, s15, v3
	v_and_or_b32 v3, v6, s10, v5
	v_cmp_ne_u32_e64 s[0:1], 0, v3
	v_cndmask_b32_e64 v3, 0, 1, s[0:1]
	v_lshrrev_b32_e32 v4, 8, v6
	v_and_or_b32 v5, v4, s11, v3
	v_bfe_u32 v4, v6, 20, 11
	v_sub_u32_e32 v10, 0x3f1, v4
	v_or_b32_e32 v3, 0x1000, v5
	v_med3_i32 v10, v10, 0, 13
	v_lshrrev_b32_e32 v11, v10, v3
	v_lshlrev_b32_e32 v10, v10, v11
	v_cmp_ne_u32_e64 s[0:1], v10, v3
	v_cndmask_b32_e64 v3, 0, 1, s[0:1]
	v_add_u32_e32 v10, 0xfffffc10, v4
	v_or_b32_e32 v3, v11, v3
	v_lshl_or_b32 v4, v10, 12, v5
	v_cmp_gt_i32_e64 s[0:1], 1, v10
	v_cndmask_b32_e64 v3, v4, v3, s[0:1]
	v_and_b32_e32 v4, 7, v3
	v_cmp_lt_i32_e64 s[0:1], 5, v4
	v_cmp_eq_u32_e64 s[2:3], 3, v4
	v_lshrrev_b32_e32 v3, 2, v3
	s_or_b64 s[0:1], s[2:3], s[0:1]
	v_addc_co_u32_e64 v3, s[0:1], 0, v3, s[0:1]
	v_cmp_gt_i32_e64 s[0:1], 31, v10
	v_cndmask_b32_e64 v11, v2, v3, s[0:1]
	v_mad_u64_u32 v[3:4], s[0:1], s8, v19, 0
	v_cmp_ne_u32_e64 s[0:1], 0, v5
	v_cndmask_b32_e64 v5, 0, 1, s[0:1]
	v_lshl_or_b32 v12, v5, 9, v2
	v_mad_u64_u32 v[4:5], s[0:1], s9, v19, v[4:5]
	v_cmp_eq_u32_e64 s[0:1], s14, v10
	v_cndmask_b32_e64 v5, v11, v12, s[0:1]
	v_lshlrev_b64 v[3:4], 2, v[3:4]
	v_lshrrev_b32_e32 v6, 16, v6
	v_and_or_b32 v5, v6, s15, v5
	v_and_b32_e32 v6, 0xffff, v9
	v_add_co_u32_e64 v3, s[0:1], v14, v3
	v_lshl_or_b32 v5, v5, 16, v6
	v_addc_co_u32_e64 v4, s[0:1], v15, v4, s[0:1]
	global_store_dword v[3:4], v5, off
	s_and_b64 exec, exec, vcc
	s_cbranch_execz .LBB0_15
; %bb.14:
	global_load_dword v5, v[7:8], off offset:40
	global_load_dword v12, v[7:8], off offset:104
	ds_read2_b32 v[3:4], v18 offset0:10 offset1:26
	global_load_dword v13, v[7:8], off offset:168
	global_load_dword v14, v[7:8], off offset:232
	;; [unrolled: 1-line block ×3, first 2 shown]
	v_mad_u64_u32 v[0:1], s[0:1], s8, 40, v[0:1]
	s_waitcnt lgkmcnt(0)
	v_lshrrev_b32_e32 v6, 16, v3
	v_lshrrev_b32_e32 v16, 16, v4
	v_mad_u64_u32 v[9:10], s[0:1], s9, 40, v[1:2]
	v_mov_b32_e32 v1, v9
	s_waitcnt vmcnt(4)
	v_mul_f16_sdwa v7, v6, v5 dst_sel:DWORD dst_unused:UNUSED_PAD src0_sel:DWORD src1_sel:WORD_1
	v_mul_f16_sdwa v8, v3, v5 dst_sel:DWORD dst_unused:UNUSED_PAD src0_sel:DWORD src1_sel:WORD_1
	v_fma_f16 v3, v3, v5, v7
	v_cvt_f32_f16_e32 v3, v3
	s_waitcnt vmcnt(3)
	v_mul_f16_sdwa v7, v16, v12 dst_sel:DWORD dst_unused:UNUSED_PAD src0_sel:DWORD src1_sel:WORD_1
	v_fma_f16 v5, v5, v6, -v8
	v_cvt_f32_f16_e32 v8, v5
	v_cvt_f64_f32_e32 v[5:6], v3
	v_fma_f16 v3, v4, v12, v7
	v_cvt_f32_f16_e32 v3, v3
	v_cvt_f64_f32_e32 v[7:8], v8
	v_mul_f64 v[5:6], v[5:6], s[12:13]
	v_mul_f16_sdwa v4, v4, v12 dst_sel:DWORD dst_unused:UNUSED_PAD src0_sel:DWORD src1_sel:WORD_1
	v_cvt_f64_f32_e32 v[10:11], v3
	v_mul_f64 v[7:8], v[7:8], s[12:13]
	v_fma_f16 v4, v12, v16, -v4
	v_cvt_f32_f16_e32 v4, v4
	v_mul_f64 v[9:10], v[10:11], s[12:13]
	v_and_or_b32 v3, v6, s10, v5
	v_cmp_ne_u32_e32 vcc, 0, v3
	v_lshrrev_b32_e32 v5, 8, v6
	v_and_or_b32 v7, v8, s10, v7
	v_bfe_u32 v11, v6, 20, 11
	v_cndmask_b32_e64 v3, 0, 1, vcc
	v_and_or_b32 v9, v10, s10, v9
	v_cmp_ne_u32_e32 vcc, 0, v7
	v_lshrrev_b32_e32 v17, 8, v8
	v_bfe_u32 v19, v8, 20, 11
	v_bfe_u32 v21, v10, 20, 11
	v_sub_u32_e32 v22, 0x3f1, v11
	v_cndmask_b32_e64 v7, 0, 1, vcc
	v_cmp_ne_u32_e32 vcc, 0, v9
	v_and_or_b32 v3, v5, s11, v3
	v_lshrrev_b32_e32 v20, 8, v10
	v_sub_u32_e32 v23, 0x3f1, v19
	v_cndmask_b32_e64 v9, 0, 1, vcc
	v_sub_u32_e32 v24, 0x3f1, v21
	v_med3_i32 v5, v22, 0, 13
	v_and_or_b32 v7, v17, s11, v7
	v_or_b32_e32 v22, 0x1000, v3
	v_add_u32_e32 v11, 0xfffffc10, v11
	v_med3_i32 v17, v23, 0, 13
	v_and_or_b32 v9, v20, s11, v9
	v_med3_i32 v20, v24, 0, 13
	v_cmp_ne_u32_e32 vcc, 0, v3
	v_or_b32_e32 v24, 0x1000, v7
	v_lshrrev_b32_e32 v28, v5, v22
	v_add_u32_e32 v19, 0xfffffc10, v19
	v_lshl_or_b32 v23, v11, 12, v3
	v_cndmask_b32_e64 v3, 0, 1, vcc
	v_cmp_ne_u32_e32 vcc, 0, v7
	v_or_b32_e32 v26, 0x1000, v9
	v_lshrrev_b32_e32 v29, v17, v24
	v_lshlrev_b32_e32 v5, v5, v28
	v_lshl_or_b32 v25, v19, 12, v7
	v_cndmask_b32_e64 v7, 0, 1, vcc
	v_lshrrev_b32_e32 v30, v20, v26
	v_lshlrev_b32_e32 v17, v17, v29
	v_cmp_ne_u32_e32 vcc, v5, v22
	v_lshlrev_b32_e32 v20, v20, v30
	v_cndmask_b32_e64 v5, 0, 1, vcc
	v_cmp_ne_u32_e32 vcc, v17, v24
	v_cndmask_b32_e64 v17, 0, 1, vcc
	v_cmp_ne_u32_e32 vcc, v20, v26
	v_cndmask_b32_e64 v20, 0, 1, vcc
	v_or_b32_e32 v5, v28, v5
	v_cmp_gt_i32_e32 vcc, 1, v11
	v_cndmask_b32_e32 v5, v23, v5, vcc
	v_or_b32_e32 v17, v29, v17
	v_cmp_gt_i32_e32 vcc, 1, v19
	v_and_b32_e32 v22, 7, v5
	v_cndmask_b32_e32 v17, v25, v17, vcc
	v_cmp_lt_i32_e32 vcc, 5, v22
	v_cmp_eq_u32_e64 s[0:1], 3, v22
	v_lshrrev_b32_e32 v5, 2, v5
	v_and_b32_e32 v23, 7, v17
	s_or_b64 vcc, s[0:1], vcc
	v_cmp_lt_i32_e64 s[2:3], 5, v23
	v_cmp_eq_u32_e64 s[4:5], 3, v23
	v_addc_co_u32_e32 v5, vcc, 0, v5, vcc
	v_lshrrev_b32_e32 v17, 2, v17
	s_or_b64 vcc, s[4:5], s[2:3]
	v_addc_co_u32_e32 v17, vcc, 0, v17, vcc
	v_cmp_gt_i32_e32 vcc, 31, v11
	v_cndmask_b32_e32 v5, v2, v5, vcc
	v_cmp_gt_i32_e32 vcc, 31, v19
	v_lshl_or_b32 v3, v3, 9, v2
	v_cndmask_b32_e32 v17, v2, v17, vcc
	v_cmp_eq_u32_e32 vcc, s14, v11
	v_lshrrev_b32_e32 v6, 16, v6
	v_lshl_or_b32 v7, v7, 9, v2
	v_cndmask_b32_e32 v3, v5, v3, vcc
	v_cmp_eq_u32_e32 vcc, s14, v19
	v_lshrrev_b32_e32 v8, 16, v8
	v_cndmask_b32_e32 v5, v17, v7, vcc
	v_and_or_b32 v3, v6, s15, v3
	v_add_u32_e32 v21, 0xfffffc10, v21
	v_and_or_b32 v5, v8, s15, v5
	v_and_b32_e32 v3, 0xffff, v3
	v_lshl_or_b32 v27, v21, 12, v9
	v_or_b32_e32 v20, v30, v20
	v_lshl_or_b32 v3, v5, 16, v3
	v_cmp_gt_i32_e32 vcc, 1, v21
	global_store_dword v[0:1], v3, off
	v_cndmask_b32_e32 v3, v27, v20, vcc
	v_and_b32_e32 v5, 7, v3
	v_cmp_lt_i32_e32 vcc, 5, v5
	v_cmp_eq_u32_e64 s[0:1], 3, v5
	v_lshrrev_b32_e32 v5, 2, v3
	v_cvt_f64_f32_e32 v[3:4], v4
	s_or_b64 vcc, s[0:1], vcc
	v_addc_co_u32_e32 v5, vcc, 0, v5, vcc
	v_mul_f64 v[3:4], v[3:4], s[12:13]
	v_cmp_gt_i32_e32 vcc, 31, v21
	v_cndmask_b32_e32 v5, v2, v5, vcc
	v_cmp_ne_u32_e32 vcc, 0, v9
	v_cndmask_b32_e64 v6, 0, 1, vcc
	v_lshl_or_b32 v6, v6, 9, v2
	v_cmp_eq_u32_e32 vcc, s14, v21
	v_cndmask_b32_e32 v5, v5, v6, vcc
	v_and_or_b32 v3, v4, s10, v3
	v_lshrrev_b32_e32 v6, 16, v10
	v_cmp_ne_u32_e32 vcc, 0, v3
	v_and_or_b32 v7, v6, s15, v5
	v_cndmask_b32_e64 v3, 0, 1, vcc
	v_lshrrev_b32_e32 v5, 8, v4
	v_bfe_u32 v6, v4, 20, 11
	v_and_or_b32 v3, v5, s11, v3
	v_sub_u32_e32 v8, 0x3f1, v6
	v_or_b32_e32 v5, 0x1000, v3
	v_med3_i32 v8, v8, 0, 13
	v_lshrrev_b32_e32 v9, v8, v5
	v_lshlrev_b32_e32 v8, v8, v9
	v_cmp_ne_u32_e32 vcc, v8, v5
	v_cndmask_b32_e64 v5, 0, 1, vcc
	v_add_u32_e32 v8, 0xfffffc10, v6
	v_or_b32_e32 v5, v9, v5
	v_lshl_or_b32 v6, v8, 12, v3
	v_cmp_gt_i32_e32 vcc, 1, v8
	v_cndmask_b32_e32 v5, v6, v5, vcc
	v_and_b32_e32 v6, 7, v5
	v_cmp_lt_i32_e32 vcc, 5, v6
	v_cmp_eq_u32_e64 s[0:1], 3, v6
	v_lshrrev_b32_e32 v5, 2, v5
	s_or_b64 vcc, s[0:1], vcc
	v_addc_co_u32_e32 v9, vcc, 0, v5, vcc
	ds_read2_b32 v[5:6], v18 offset0:42 offset1:58
	v_cmp_gt_i32_e32 vcc, 31, v8
	v_cndmask_b32_e32 v9, v2, v9, vcc
	v_cmp_ne_u32_e32 vcc, 0, v3
	v_cndmask_b32_e64 v3, 0, 1, vcc
	s_waitcnt lgkmcnt(0)
	v_lshrrev_b32_e32 v10, 16, v5
	s_waitcnt vmcnt(3)
	v_mul_f16_sdwa v11, v10, v13 dst_sel:DWORD dst_unused:UNUSED_PAD src0_sel:DWORD src1_sel:WORD_1
	v_fma_f16 v11, v5, v13, v11
	v_cvt_f32_f16_e32 v11, v11
	v_lshl_or_b32 v3, v3, 9, v2
	v_cmp_eq_u32_e32 vcc, s14, v8
	v_cndmask_b32_e32 v8, v9, v3, vcc
	v_lshrrev_b32_e32 v9, 16, v4
	v_cvt_f64_f32_e32 v[3:4], v11
	s_lshl_b64 s[2:3], s[8:9], 6
	v_and_or_b32 v8, v9, s15, v8
	v_mov_b32_e32 v9, s3
	v_mul_f64 v[3:4], v[3:4], s[12:13]
	v_add_co_u32_e32 v0, vcc, s2, v0
	v_and_b32_e32 v7, 0xffff, v7
	v_addc_co_u32_e32 v1, vcc, v1, v9, vcc
	v_lshl_or_b32 v7, v8, 16, v7
	global_store_dword v[0:1], v7, off
	v_and_or_b32 v3, v4, s10, v3
	v_cmp_ne_u32_e32 vcc, 0, v3
	v_cndmask_b32_e64 v3, 0, 1, vcc
	v_lshrrev_b32_e32 v7, 8, v4
	v_bfe_u32 v8, v4, 20, 11
	v_and_or_b32 v3, v7, s11, v3
	v_sub_u32_e32 v11, 0x3f1, v8
	v_or_b32_e32 v7, 0x1000, v3
	v_med3_i32 v11, v11, 0, 13
	v_lshrrev_b32_e32 v12, v11, v7
	v_lshlrev_b32_e32 v11, v11, v12
	v_mul_f16_sdwa v5, v5, v13 dst_sel:DWORD dst_unused:UNUSED_PAD src0_sel:DWORD src1_sel:WORD_1
	v_cmp_ne_u32_e32 vcc, v11, v7
	v_fma_f16 v5, v13, v10, -v5
	v_cndmask_b32_e64 v7, 0, 1, vcc
	v_add_u32_e32 v11, 0xfffffc10, v8
	v_cvt_f32_f16_e32 v5, v5
	v_or_b32_e32 v7, v12, v7
	v_lshl_or_b32 v8, v11, 12, v3
	v_cmp_gt_i32_e32 vcc, 1, v11
	v_cndmask_b32_e32 v7, v8, v7, vcc
	v_and_b32_e32 v8, 7, v7
	v_cmp_lt_i32_e32 vcc, 5, v8
	v_cmp_eq_u32_e64 s[0:1], 3, v8
	v_lshrrev_b32_e32 v10, 2, v7
	v_cvt_f64_f32_e32 v[7:8], v5
	s_or_b64 vcc, s[0:1], vcc
	v_addc_co_u32_e32 v5, vcc, 0, v10, vcc
	v_mul_f64 v[7:8], v[7:8], s[12:13]
	v_cmp_gt_i32_e32 vcc, 31, v11
	v_cndmask_b32_e32 v5, v2, v5, vcc
	v_cmp_ne_u32_e32 vcc, 0, v3
	v_cndmask_b32_e64 v3, 0, 1, vcc
	v_lshl_or_b32 v3, v3, 9, v2
	v_cmp_eq_u32_e32 vcc, s14, v11
	v_cndmask_b32_e32 v3, v5, v3, vcc
	v_lshrrev_b32_e32 v4, 16, v4
	v_and_or_b32 v5, v4, s15, v3
	v_and_or_b32 v3, v8, s10, v7
	v_cmp_ne_u32_e32 vcc, 0, v3
	v_cndmask_b32_e64 v3, 0, 1, vcc
	v_lshrrev_b32_e32 v4, 8, v8
	v_bfe_u32 v7, v8, 20, 11
	v_and_or_b32 v3, v4, s11, v3
	v_sub_u32_e32 v10, 0x3f1, v7
	v_or_b32_e32 v4, 0x1000, v3
	v_med3_i32 v10, v10, 0, 13
	v_lshrrev_b32_e32 v11, v10, v4
	v_lshlrev_b32_e32 v10, v10, v11
	v_cmp_ne_u32_e32 vcc, v10, v4
	v_cndmask_b32_e64 v4, 0, 1, vcc
	v_add_u32_e32 v7, 0xfffffc10, v7
	v_or_b32_e32 v4, v11, v4
	v_lshl_or_b32 v10, v7, 12, v3
	v_cmp_gt_i32_e32 vcc, 1, v7
	v_cndmask_b32_e32 v4, v10, v4, vcc
	v_and_b32_e32 v10, 7, v4
	v_cmp_lt_i32_e32 vcc, 5, v10
	v_cmp_eq_u32_e64 s[0:1], 3, v10
	v_lshrrev_b32_e32 v4, 2, v4
	s_or_b64 vcc, s[0:1], vcc
	v_addc_co_u32_e32 v4, vcc, 0, v4, vcc
	v_cmp_gt_i32_e32 vcc, 31, v7
	v_lshrrev_b32_e32 v11, 16, v6
	v_cndmask_b32_e32 v10, v2, v4, vcc
	s_waitcnt vmcnt(3)
	v_mul_f16_sdwa v4, v11, v14 dst_sel:DWORD dst_unused:UNUSED_PAD src0_sel:DWORD src1_sel:WORD_1
	v_fma_f16 v4, v6, v14, v4
	v_cvt_f32_f16_e32 v4, v4
	v_cmp_ne_u32_e32 vcc, 0, v3
	v_cndmask_b32_e64 v3, 0, 1, vcc
	v_lshl_or_b32 v12, v3, 9, v2
	v_cvt_f64_f32_e32 v[3:4], v4
	v_cmp_eq_u32_e32 vcc, s14, v7
	v_cndmask_b32_e32 v7, v10, v12, vcc
	v_lshrrev_b32_e32 v8, 16, v8
	v_mul_f64 v[3:4], v[3:4], s[12:13]
	v_add_co_u32_e32 v0, vcc, s2, v0
	v_and_or_b32 v7, v8, s15, v7
	v_and_b32_e32 v5, 0xffff, v5
	v_addc_co_u32_e32 v1, vcc, v1, v9, vcc
	v_lshl_or_b32 v5, v7, 16, v5
	v_and_or_b32 v3, v4, s10, v3
	v_cmp_ne_u32_e32 vcc, 0, v3
	global_store_dword v[0:1], v5, off
	v_cndmask_b32_e64 v3, 0, 1, vcc
	v_lshrrev_b32_e32 v5, 8, v4
	v_bfe_u32 v7, v4, 20, 11
	v_and_or_b32 v3, v5, s11, v3
	v_sub_u32_e32 v8, 0x3f1, v7
	v_or_b32_e32 v5, 0x1000, v3
	v_med3_i32 v8, v8, 0, 13
	v_lshrrev_b32_e32 v10, v8, v5
	v_lshlrev_b32_e32 v8, v8, v10
	v_mul_f16_sdwa v6, v6, v14 dst_sel:DWORD dst_unused:UNUSED_PAD src0_sel:DWORD src1_sel:WORD_1
	v_cmp_ne_u32_e32 vcc, v8, v5
	v_fma_f16 v6, v14, v11, -v6
	v_cndmask_b32_e64 v5, 0, 1, vcc
	v_add_u32_e32 v7, 0xfffffc10, v7
	v_cvt_f32_f16_e32 v6, v6
	v_or_b32_e32 v5, v10, v5
	v_lshl_or_b32 v8, v7, 12, v3
	v_cmp_gt_i32_e32 vcc, 1, v7
	v_cndmask_b32_e32 v5, v8, v5, vcc
	v_and_b32_e32 v8, 7, v5
	v_cmp_lt_i32_e32 vcc, 5, v8
	v_cmp_eq_u32_e64 s[0:1], 3, v8
	v_lshrrev_b32_e32 v8, 2, v5
	v_cvt_f64_f32_e32 v[5:6], v6
	s_or_b64 vcc, s[0:1], vcc
	v_addc_co_u32_e32 v8, vcc, 0, v8, vcc
	v_mul_f64 v[5:6], v[5:6], s[12:13]
	v_cmp_gt_i32_e32 vcc, 31, v7
	v_cndmask_b32_e32 v8, v2, v8, vcc
	v_cmp_ne_u32_e32 vcc, 0, v3
	v_cndmask_b32_e64 v3, 0, 1, vcc
	v_lshl_or_b32 v3, v3, 9, v2
	v_cmp_eq_u32_e32 vcc, s14, v7
	v_cndmask_b32_e32 v3, v8, v3, vcc
	v_lshrrev_b32_e32 v4, 16, v4
	v_and_or_b32 v7, v4, s15, v3
	v_and_or_b32 v3, v6, s10, v5
	v_cmp_ne_u32_e32 vcc, 0, v3
	v_cndmask_b32_e64 v3, 0, 1, vcc
	v_lshrrev_b32_e32 v4, 8, v6
	v_bfe_u32 v5, v6, 20, 11
	v_and_or_b32 v3, v4, s11, v3
	v_sub_u32_e32 v8, 0x3f1, v5
	v_or_b32_e32 v4, 0x1000, v3
	v_med3_i32 v8, v8, 0, 13
	v_lshrrev_b32_e32 v10, v8, v4
	v_lshlrev_b32_e32 v8, v8, v10
	v_cmp_ne_u32_e32 vcc, v8, v4
	v_cndmask_b32_e64 v4, 0, 1, vcc
	v_add_u32_e32 v5, 0xfffffc10, v5
	v_or_b32_e32 v4, v10, v4
	v_lshl_or_b32 v8, v5, 12, v3
	v_cmp_gt_i32_e32 vcc, 1, v5
	v_cndmask_b32_e32 v4, v8, v4, vcc
	v_and_b32_e32 v8, 7, v4
	v_cmp_lt_i32_e32 vcc, 5, v8
	v_cmp_eq_u32_e64 s[0:1], 3, v8
	ds_read_b32 v8, v18 offset:296
	v_lshrrev_b32_e32 v4, 2, v4
	s_or_b64 vcc, s[0:1], vcc
	v_addc_co_u32_e32 v4, vcc, 0, v4, vcc
	v_cmp_gt_i32_e32 vcc, 31, v5
	s_waitcnt lgkmcnt(0)
	v_lshrrev_b32_e32 v11, 16, v8
	v_cndmask_b32_e32 v10, v2, v4, vcc
	s_waitcnt vmcnt(3)
	v_mul_f16_sdwa v4, v11, v15 dst_sel:DWORD dst_unused:UNUSED_PAD src0_sel:DWORD src1_sel:WORD_1
	v_fma_f16 v4, v8, v15, v4
	v_cvt_f32_f16_e32 v4, v4
	v_cmp_ne_u32_e32 vcc, 0, v3
	v_cndmask_b32_e64 v3, 0, 1, vcc
	v_lshl_or_b32 v12, v3, 9, v2
	v_cvt_f64_f32_e32 v[3:4], v4
	v_cmp_eq_u32_e32 vcc, s14, v5
	v_cndmask_b32_e32 v5, v10, v12, vcc
	v_lshrrev_b32_e32 v6, 16, v6
	v_mul_f64 v[3:4], v[3:4], s[12:13]
	v_add_co_u32_e32 v0, vcc, s2, v0
	v_and_or_b32 v5, v6, s15, v5
	v_and_b32_e32 v6, 0xffff, v7
	v_addc_co_u32_e32 v1, vcc, v1, v9, vcc
	v_lshl_or_b32 v5, v5, 16, v6
	v_and_or_b32 v3, v4, s10, v3
	v_cmp_ne_u32_e32 vcc, 0, v3
	global_store_dword v[0:1], v5, off
	v_cndmask_b32_e64 v3, 0, 1, vcc
	v_lshrrev_b32_e32 v5, 8, v4
	v_bfe_u32 v6, v4, 20, 11
	v_and_or_b32 v3, v5, s11, v3
	v_sub_u32_e32 v7, 0x3f1, v6
	v_or_b32_e32 v5, 0x1000, v3
	v_med3_i32 v7, v7, 0, 13
	v_lshrrev_b32_e32 v10, v7, v5
	v_lshlrev_b32_e32 v7, v7, v10
	v_mul_f16_sdwa v8, v8, v15 dst_sel:DWORD dst_unused:UNUSED_PAD src0_sel:DWORD src1_sel:WORD_1
	v_cmp_ne_u32_e32 vcc, v7, v5
	v_fma_f16 v8, v15, v11, -v8
	v_cndmask_b32_e64 v5, 0, 1, vcc
	v_add_u32_e32 v7, 0xfffffc10, v6
	v_cvt_f32_f16_e32 v8, v8
	v_or_b32_e32 v5, v10, v5
	v_lshl_or_b32 v6, v7, 12, v3
	v_cmp_gt_i32_e32 vcc, 1, v7
	v_cndmask_b32_e32 v5, v6, v5, vcc
	v_and_b32_e32 v6, 7, v5
	v_cmp_lt_i32_e32 vcc, 5, v6
	v_cmp_eq_u32_e64 s[0:1], 3, v6
	v_lshrrev_b32_e32 v10, 2, v5
	v_cvt_f64_f32_e32 v[5:6], v8
	s_or_b64 vcc, s[0:1], vcc
	v_addc_co_u32_e32 v8, vcc, 0, v10, vcc
	v_mul_f64 v[5:6], v[5:6], s[12:13]
	v_cmp_gt_i32_e32 vcc, 31, v7
	v_cndmask_b32_e32 v8, v2, v8, vcc
	v_cmp_ne_u32_e32 vcc, 0, v3
	v_cndmask_b32_e64 v3, 0, 1, vcc
	v_lshl_or_b32 v3, v3, 9, v2
	v_cmp_eq_u32_e32 vcc, s14, v7
	v_cndmask_b32_e32 v3, v8, v3, vcc
	v_lshrrev_b32_e32 v4, 16, v4
	v_and_or_b32 v3, v4, s15, v3
	v_and_or_b32 v4, v6, s10, v5
	v_cmp_ne_u32_e32 vcc, 0, v4
	v_cndmask_b32_e64 v4, 0, 1, vcc
	v_lshrrev_b32_e32 v5, 8, v6
	v_bfe_u32 v7, v6, 20, 11
	v_and_or_b32 v4, v5, s11, v4
	v_sub_u32_e32 v8, 0x3f1, v7
	v_or_b32_e32 v5, 0x1000, v4
	v_med3_i32 v8, v8, 0, 13
	v_lshrrev_b32_e32 v10, v8, v5
	v_lshlrev_b32_e32 v8, v8, v10
	v_cmp_ne_u32_e32 vcc, v8, v5
	v_cndmask_b32_e64 v5, 0, 1, vcc
	v_add_u32_e32 v7, 0xfffffc10, v7
	v_or_b32_e32 v5, v10, v5
	v_lshl_or_b32 v8, v7, 12, v4
	v_cmp_gt_i32_e32 vcc, 1, v7
	v_cndmask_b32_e32 v5, v8, v5, vcc
	v_and_b32_e32 v8, 7, v5
	v_cmp_lt_i32_e32 vcc, 5, v8
	v_cmp_eq_u32_e64 s[0:1], 3, v8
	v_lshrrev_b32_e32 v5, 2, v5
	s_or_b64 vcc, s[0:1], vcc
	v_addc_co_u32_e32 v5, vcc, 0, v5, vcc
	v_cmp_gt_i32_e32 vcc, 31, v7
	v_cndmask_b32_e32 v5, v2, v5, vcc
	v_cmp_ne_u32_e32 vcc, 0, v4
	v_cndmask_b32_e64 v4, 0, 1, vcc
	v_lshl_or_b32 v2, v4, 9, v2
	v_cmp_eq_u32_e32 vcc, s14, v7
	v_cndmask_b32_e32 v2, v5, v2, vcc
	v_lshrrev_b32_e32 v4, 16, v6
	v_and_or_b32 v2, v4, s15, v2
	v_and_b32_e32 v3, 0xffff, v3
	v_add_co_u32_e32 v0, vcc, s2, v0
	v_lshl_or_b32 v2, v2, 16, v3
	v_addc_co_u32_e32 v1, vcc, v1, v9, vcc
	global_store_dword v[0:1], v2, off
.LBB0_15:
	s_endpgm
	.section	.rodata,"a",@progbits
	.p2align	6, 0x0
	.amdhsa_kernel bluestein_single_back_len80_dim1_half_op_CI_CI
		.amdhsa_group_segment_fixed_size 1920
		.amdhsa_private_segment_fixed_size 0
		.amdhsa_kernarg_size 104
		.amdhsa_user_sgpr_count 6
		.amdhsa_user_sgpr_private_segment_buffer 1
		.amdhsa_user_sgpr_dispatch_ptr 0
		.amdhsa_user_sgpr_queue_ptr 0
		.amdhsa_user_sgpr_kernarg_segment_ptr 1
		.amdhsa_user_sgpr_dispatch_id 0
		.amdhsa_user_sgpr_flat_scratch_init 0
		.amdhsa_user_sgpr_private_segment_size 0
		.amdhsa_uses_dynamic_stack 0
		.amdhsa_system_sgpr_private_segment_wavefront_offset 0
		.amdhsa_system_sgpr_workgroup_id_x 1
		.amdhsa_system_sgpr_workgroup_id_y 0
		.amdhsa_system_sgpr_workgroup_id_z 0
		.amdhsa_system_sgpr_workgroup_info 0
		.amdhsa_system_vgpr_workitem_id 0
		.amdhsa_next_free_vgpr 58
		.amdhsa_next_free_sgpr 18
		.amdhsa_reserve_vcc 1
		.amdhsa_reserve_flat_scratch 0
		.amdhsa_float_round_mode_32 0
		.amdhsa_float_round_mode_16_64 0
		.amdhsa_float_denorm_mode_32 3
		.amdhsa_float_denorm_mode_16_64 3
		.amdhsa_dx10_clamp 1
		.amdhsa_ieee_mode 1
		.amdhsa_fp16_overflow 0
		.amdhsa_exception_fp_ieee_invalid_op 0
		.amdhsa_exception_fp_denorm_src 0
		.amdhsa_exception_fp_ieee_div_zero 0
		.amdhsa_exception_fp_ieee_overflow 0
		.amdhsa_exception_fp_ieee_underflow 0
		.amdhsa_exception_fp_ieee_inexact 0
		.amdhsa_exception_int_div_zero 0
	.end_amdhsa_kernel
	.text
.Lfunc_end0:
	.size	bluestein_single_back_len80_dim1_half_op_CI_CI, .Lfunc_end0-bluestein_single_back_len80_dim1_half_op_CI_CI
                                        ; -- End function
	.section	.AMDGPU.csdata,"",@progbits
; Kernel info:
; codeLenInByte = 12116
; NumSgprs: 22
; NumVgprs: 58
; ScratchSize: 0
; MemoryBound: 0
; FloatMode: 240
; IeeeMode: 1
; LDSByteSize: 1920 bytes/workgroup (compile time only)
; SGPRBlocks: 2
; VGPRBlocks: 14
; NumSGPRsForWavesPerEU: 22
; NumVGPRsForWavesPerEU: 58
; Occupancy: 4
; WaveLimiterHint : 1
; COMPUTE_PGM_RSRC2:SCRATCH_EN: 0
; COMPUTE_PGM_RSRC2:USER_SGPR: 6
; COMPUTE_PGM_RSRC2:TRAP_HANDLER: 0
; COMPUTE_PGM_RSRC2:TGID_X_EN: 1
; COMPUTE_PGM_RSRC2:TGID_Y_EN: 0
; COMPUTE_PGM_RSRC2:TGID_Z_EN: 0
; COMPUTE_PGM_RSRC2:TIDIG_COMP_CNT: 0
	.type	__hip_cuid_1b18dae67f21bfea,@object ; @__hip_cuid_1b18dae67f21bfea
	.section	.bss,"aw",@nobits
	.globl	__hip_cuid_1b18dae67f21bfea
__hip_cuid_1b18dae67f21bfea:
	.byte	0                               ; 0x0
	.size	__hip_cuid_1b18dae67f21bfea, 1

	.ident	"AMD clang version 19.0.0git (https://github.com/RadeonOpenCompute/llvm-project roc-6.4.0 25133 c7fe45cf4b819c5991fe208aaa96edf142730f1d)"
	.section	".note.GNU-stack","",@progbits
	.addrsig
	.addrsig_sym __hip_cuid_1b18dae67f21bfea
	.amdgpu_metadata
---
amdhsa.kernels:
  - .args:
      - .actual_access:  read_only
        .address_space:  global
        .offset:         0
        .size:           8
        .value_kind:     global_buffer
      - .actual_access:  read_only
        .address_space:  global
        .offset:         8
        .size:           8
        .value_kind:     global_buffer
      - .actual_access:  read_only
        .address_space:  global
        .offset:         16
        .size:           8
        .value_kind:     global_buffer
      - .actual_access:  read_only
        .address_space:  global
        .offset:         24
        .size:           8
        .value_kind:     global_buffer
      - .actual_access:  read_only
        .address_space:  global
        .offset:         32
        .size:           8
        .value_kind:     global_buffer
      - .offset:         40
        .size:           8
        .value_kind:     by_value
      - .address_space:  global
        .offset:         48
        .size:           8
        .value_kind:     global_buffer
      - .address_space:  global
        .offset:         56
        .size:           8
        .value_kind:     global_buffer
      - .address_space:  global
        .offset:         64
        .size:           8
        .value_kind:     global_buffer
      - .address_space:  global
        .offset:         72
        .size:           8
        .value_kind:     global_buffer
      - .offset:         80
        .size:           4
        .value_kind:     by_value
      - .address_space:  global
        .offset:         88
        .size:           8
        .value_kind:     global_buffer
      - .address_space:  global
        .offset:         96
        .size:           8
        .value_kind:     global_buffer
    .group_segment_fixed_size: 1920
    .kernarg_segment_align: 8
    .kernarg_segment_size: 104
    .language:       OpenCL C
    .language_version:
      - 2
      - 0
    .max_flat_workgroup_size: 60
    .name:           bluestein_single_back_len80_dim1_half_op_CI_CI
    .private_segment_fixed_size: 0
    .sgpr_count:     22
    .sgpr_spill_count: 0
    .symbol:         bluestein_single_back_len80_dim1_half_op_CI_CI.kd
    .uniform_work_group_size: 1
    .uses_dynamic_stack: false
    .vgpr_count:     58
    .vgpr_spill_count: 0
    .wavefront_size: 64
amdhsa.target:   amdgcn-amd-amdhsa--gfx906
amdhsa.version:
  - 1
  - 2
...

	.end_amdgpu_metadata
